;; amdgpu-corpus repo=ROCm/rocFFT kind=compiled arch=gfx1030 opt=O3
	.text
	.amdgcn_target "amdgcn-amd-amdhsa--gfx1030"
	.amdhsa_code_object_version 6
	.protected	bluestein_single_back_len1210_dim1_dp_op_CI_CI ; -- Begin function bluestein_single_back_len1210_dim1_dp_op_CI_CI
	.globl	bluestein_single_back_len1210_dim1_dp_op_CI_CI
	.p2align	8
	.type	bluestein_single_back_len1210_dim1_dp_op_CI_CI,@function
bluestein_single_back_len1210_dim1_dp_op_CI_CI: ; @bluestein_single_back_len1210_dim1_dp_op_CI_CI
; %bb.0:
	s_load_dwordx4 s[8:11], s[4:5], 0x28
	v_mul_u32_u24_e32 v1, 0x254, v0
	v_mov_b32_e32 v199, 0
	s_mov_b32 s0, exec_lo
	v_lshrrev_b32_e32 v1, 16, v1
	v_add_nc_u32_e32 v198, s6, v1
	s_waitcnt lgkmcnt(0)
	v_cmpx_gt_u64_e64 s[8:9], v[198:199]
	s_cbranch_execz .LBB0_23
; %bb.1:
	s_clause 0x1
	s_load_dwordx4 s[0:3], s[4:5], 0x18
	s_load_dwordx2 s[6:7], s[4:5], 0x0
	v_mul_lo_u16 v1, 0x6e, v1
	v_sub_nc_u16 v122, v0, v1
	v_and_b32_e32 v202, 0xffff, v122
	v_lshlrev_b32_e32 v201, 4, v202
	s_waitcnt lgkmcnt(0)
	s_load_dwordx4 s[12:15], s[0:1], 0x0
	s_clause 0x1
	global_load_dwordx4 v[0:3], v201, s[6:7]
	global_load_dwordx4 v[4:7], v201, s[6:7] offset:1760
	v_add_co_u32 v188, s0, s6, v201
	v_add_co_ci_u32_e64 v189, null, s7, 0, s0
	v_add_co_u32 v196, vcc_lo, 0x2000, v188
	v_add_co_ci_u32_e32 v197, vcc_lo, 0, v189, vcc_lo
	v_add_co_u32 v8, vcc_lo, 0x2800, v188
	v_add_co_ci_u32_e32 v9, vcc_lo, 0, v189, vcc_lo
	;; [unrolled: 2-line block ×3, first 2 shown]
	s_waitcnt lgkmcnt(0)
	v_mad_u64_u32 v[10:11], null, s14, v198, 0
	v_mad_u64_u32 v[14:15], null, s12, v202, 0
	v_add_co_u32 v28, vcc_lo, 0x3000, v188
	v_add_co_ci_u32_e32 v29, vcc_lo, 0, v189, vcc_lo
	v_mad_u64_u32 v[16:17], null, s15, v198, v[11:12]
	v_add_co_u32 v30, vcc_lo, 0x1000, v188
	v_add_co_ci_u32_e32 v31, vcc_lo, 0, v189, vcc_lo
	v_add_co_u32 v32, vcc_lo, 0x3800, v188
	v_mad_u64_u32 v[17:18], null, s13, v202, v[15:16]
	v_mov_b32_e32 v11, v16
	v_add_co_ci_u32_e32 v33, vcc_lo, 0, v189, vcc_lo
	s_mul_i32 s1, s13, 0x25d
	s_mul_hi_u32 s7, s12, 0x25d
	v_lshlrev_b64 v[10:11], 4, v[10:11]
	v_mov_b32_e32 v15, v17
	s_mul_i32 s0, s12, 0x25d
	s_mul_hi_u32 s9, s12, 0xfffffe11
	s_add_i32 s1, s7, s1
	s_mul_i32 s8, s13, 0xfffffe11
	v_lshlrev_b64 v[14:15], 4, v[14:15]
	v_add_co_u32 v10, vcc_lo, s10, v10
	v_add_co_ci_u32_e32 v11, vcc_lo, s11, v11, vcc_lo
	s_mul_i32 s6, s12, 0xfffffe11
	v_add_co_u32 v34, vcc_lo, v10, v14
	v_add_co_ci_u32_e32 v35, vcc_lo, v11, v15, vcc_lo
	s_sub_i32 s7, s9, s12
	s_lshl_b64 s[12:13], s[0:1], 4
	s_add_i32 s7, s7, s8
	v_add_co_u32 v36, vcc_lo, v34, s12
	v_add_co_ci_u32_e32 v37, vcc_lo, s13, v35, vcc_lo
	s_lshl_b64 s[0:1], s[6:7], 4
	s_clause 0x1
	global_load_dwordx4 v[20:23], v[8:9], off offset:1200
	global_load_dwordx4 v[16:19], v[12:13], off offset:1472
	v_add_co_u32 v38, vcc_lo, v36, s0
	v_add_co_ci_u32_e32 v39, vcc_lo, s1, v37, vcc_lo
	s_clause 0x1
	global_load_dwordx4 v[12:15], v[28:29], off offset:912
	global_load_dwordx4 v[8:11], v[30:31], off offset:1184
	v_add_co_u32 v40, vcc_lo, v38, s12
	v_add_co_ci_u32_e32 v41, vcc_lo, s13, v39, vcc_lo
	global_load_dwordx4 v[24:27], v[196:197], off offset:1488
	v_add_co_u32 v58, vcc_lo, v40, s0
	v_add_co_ci_u32_e32 v59, vcc_lo, s1, v41, vcc_lo
	s_clause 0x1
	global_load_dwordx4 v[42:45], v[34:35], off
	global_load_dwordx4 v[46:49], v[36:37], off
	v_add_co_u32 v28, vcc_lo, v58, s12
	v_add_co_ci_u32_e32 v29, vcc_lo, s13, v59, vcc_lo
	v_add_co_u32 v30, vcc_lo, v28, s0
	v_add_co_ci_u32_e32 v31, vcc_lo, s1, v29, vcc_lo
	;; [unrolled: 2-line block ×3, first 2 shown]
	s_clause 0x2
	global_load_dwordx4 v[50:53], v[38:39], off
	global_load_dwordx4 v[54:57], v[40:41], off
	;; [unrolled: 1-line block ×6, first 2 shown]
	v_add_co_u32 v34, vcc_lo, v34, s0
	v_add_co_ci_u32_e32 v35, vcc_lo, s1, v35, vcc_lo
	v_add_co_u32 v36, vcc_lo, 0x1800, v188
	v_add_co_ci_u32_e32 v37, vcc_lo, 0, v189, vcc_lo
	;; [unrolled: 2-line block ×4, first 2 shown]
	global_load_dwordx4 v[28:31], v[32:33], off offset:624
	global_load_dwordx4 v[74:77], v[34:35], off
	s_clause 0x1
	global_load_dwordx4 v[32:35], v[36:37], off offset:896
	global_load_dwordx4 v[36:39], v[38:39], off offset:336
	global_load_dwordx4 v[78:81], v[40:41], off
	s_load_dwordx2 s[6:7], s[4:5], 0x38
	s_load_dwordx4 s[8:11], s[2:3], 0x0
	v_cmp_gt_u16_e32 vcc_lo, 55, v122
	s_waitcnt vmcnt(12)
	v_mul_f64 v[82:83], v[44:45], v[2:3]
	v_mul_f64 v[84:85], v[42:43], v[2:3]
	s_waitcnt vmcnt(11)
	v_mul_f64 v[86:87], v[48:49], v[26:27]
	v_mul_f64 v[88:89], v[46:47], v[26:27]
	s_waitcnt vmcnt(10)
	v_mul_f64 v[90:91], v[52:53], v[6:7]
	v_mul_f64 v[92:93], v[50:51], v[6:7]
	s_waitcnt vmcnt(9)
	v_mul_f64 v[94:95], v[56:57], v[22:23]
	v_mul_f64 v[96:97], v[54:55], v[22:23]
	s_waitcnt vmcnt(6)
	v_mul_f64 v[106:107], v[68:69], v[10:11]
	v_mul_f64 v[108:109], v[66:67], v[10:11]
	v_mul_f64 v[98:99], v[60:61], v[18:19]
	v_mul_f64 v[100:101], v[58:59], v[18:19]
	v_mul_f64 v[102:103], v[64:65], v[14:15]
	v_mul_f64 v[104:105], v[62:63], v[14:15]
	v_fma_f64 v[42:43], v[42:43], v[0:1], v[82:83]
	v_fma_f64 v[44:45], v[44:45], v[0:1], -v[84:85]
	v_fma_f64 v[46:47], v[46:47], v[24:25], v[86:87]
	v_fma_f64 v[48:49], v[48:49], v[24:25], -v[88:89]
	s_waitcnt vmcnt(4)
	v_mul_f64 v[110:111], v[72:73], v[30:31]
	v_mul_f64 v[112:113], v[70:71], v[30:31]
	s_waitcnt vmcnt(2)
	v_mul_f64 v[114:115], v[76:77], v[34:35]
	v_mul_f64 v[116:117], v[74:75], v[34:35]
	;; [unrolled: 3-line block ×3, first 2 shown]
	v_fma_f64 v[50:51], v[50:51], v[4:5], v[90:91]
	v_fma_f64 v[52:53], v[52:53], v[4:5], -v[92:93]
	v_fma_f64 v[66:67], v[66:67], v[8:9], v[106:107]
	v_fma_f64 v[68:69], v[68:69], v[8:9], -v[108:109]
	;; [unrolled: 2-line block ×5, first 2 shown]
	ds_write_b128 v201, v[42:45]
	ds_write_b128 v201, v[46:49] offset:9680
	ds_write_b128 v201, v[50:53] offset:1760
	;; [unrolled: 1-line block ×5, first 2 shown]
	v_fma_f64 v[70:71], v[70:71], v[28:29], v[110:111]
	v_fma_f64 v[72:73], v[72:73], v[28:29], -v[112:113]
	v_fma_f64 v[74:75], v[74:75], v[32:33], v[114:115]
	v_fma_f64 v[76:77], v[76:77], v[32:33], -v[116:117]
	v_fma_f64 v[78:79], v[78:79], v[36:37], v[118:119]
	v_fma_f64 v[80:81], v[80:81], v[36:37], -v[120:121]
	ds_write_b128 v201, v[66:69] offset:5280
	ds_write_b128 v201, v[70:73] offset:14960
	;; [unrolled: 1-line block ×4, first 2 shown]
	s_and_saveexec_b32 s2, vcc_lo
	s_cbranch_execz .LBB0_3
; %bb.2:
	v_add_co_u32 v40, s0, v40, s0
	v_add_co_ci_u32_e64 v41, s0, s1, v41, s0
	v_add_co_u32 v48, s0, 0x4800, v188
	v_add_co_ci_u32_e64 v49, s0, 0, v189, s0
	;; [unrolled: 2-line block ×3, first 2 shown]
	global_load_dwordx4 v[40:43], v[40:41], off
	s_clause 0x1
	global_load_dwordx4 v[44:47], v[196:197], off offset:608
	global_load_dwordx4 v[48:51], v[48:49], off offset:48
	global_load_dwordx4 v[52:55], v[52:53], off
	s_waitcnt vmcnt(2)
	v_mul_f64 v[56:57], v[42:43], v[46:47]
	v_mul_f64 v[46:47], v[40:41], v[46:47]
	s_waitcnt vmcnt(0)
	v_mul_f64 v[58:59], v[54:55], v[50:51]
	v_mul_f64 v[50:51], v[52:53], v[50:51]
	v_fma_f64 v[40:41], v[40:41], v[44:45], v[56:57]
	v_fma_f64 v[42:43], v[42:43], v[44:45], -v[46:47]
	v_fma_f64 v[44:45], v[52:53], v[48:49], v[58:59]
	v_fma_f64 v[46:47], v[54:55], v[48:49], -v[50:51]
	ds_write_b128 v201, v[40:43] offset:8800
	ds_write_b128 v201, v[44:47] offset:18480
.LBB0_3:
	s_or_b32 exec_lo, exec_lo, s2
	s_waitcnt lgkmcnt(0)
	s_barrier
	buffer_gl0_inv
	ds_read_b128 v[52:55], v201
	ds_read_b128 v[56:59], v201 offset:1760
	ds_read_b128 v[80:83], v201 offset:11440
	ds_read_b128 v[76:79], v201 offset:13200
	ds_read_b128 v[64:67], v201 offset:3520
	ds_read_b128 v[40:43], v201 offset:5280
	ds_read_b128 v[84:87], v201 offset:9680
	ds_read_b128 v[44:47], v201 offset:7040
	ds_read_b128 v[72:75], v201 offset:14960
	ds_read_b128 v[60:63], v201 offset:16720
                                        ; implicit-def: $vgpr48_vgpr49
                                        ; implicit-def: $vgpr68_vgpr69
	s_and_saveexec_b32 s0, vcc_lo
	s_cbranch_execz .LBB0_5
; %bb.4:
	ds_read_b128 v[48:51], v201 offset:8800
	ds_read_b128 v[68:71], v201 offset:18480
.LBB0_5:
	s_or_b32 exec_lo, exec_lo, s0
	s_waitcnt lgkmcnt(7)
	v_add_f64 v[80:81], v[56:57], -v[80:81]
	v_add_f64 v[82:83], v[58:59], -v[82:83]
	s_waitcnt lgkmcnt(1)
	v_add_f64 v[72:73], v[40:41], -v[72:73]
	v_add_f64 v[74:75], v[42:43], -v[74:75]
	;; [unrolled: 3-line block ×3, first 2 shown]
	v_add_f64 v[60:61], v[48:49], -v[68:69]
	v_add_f64 v[62:63], v[50:51], -v[70:71]
	;; [unrolled: 1-line block ×6, first 2 shown]
	s_load_dwordx2 s[14:15], s[4:5], 0x8
	v_add_co_u32 v117, null, 0x6e, v202
	v_add_co_u32 v116, null, 0xdc, v202
	v_lshlrev_b16 v92, 1, v202
	v_lshlrev_b32_e32 v211, 5, v202
	v_lshlrev_b32_e32 v206, 5, v117
	;; [unrolled: 1-line block ×3, first 2 shown]
	s_waitcnt lgkmcnt(0)
	v_fma_f64 v[68:69], v[56:57], 2.0, -v[80:81]
	v_fma_f64 v[70:71], v[58:59], 2.0, -v[82:83]
	;; [unrolled: 1-line block ×12, first 2 shown]
	v_mov_b32_e32 v48, 4
	v_add_co_u32 v49, null, 0x226, v202
	s_barrier
	buffer_gl0_inv
	v_lshlrev_b32_sdwa v205, v48, v92 dst_sel:DWORD dst_unused:UNUSED_PAD src0_sel:DWORD src1_sel:WORD_0
	v_lshlrev_b32_e32 v208, 5, v49
	ds_write_b128 v205, v[84:87] offset:16
	ds_write_b128 v206, v[80:83] offset:16
	ds_write_b128 v205, v[52:55]
	ds_write_b128 v206, v[68:71]
	ds_write_b128 v207, v[64:67]
	ds_write_b128 v207, v[76:79] offset:16
	ds_write_b128 v211, v[40:43] offset:10560
	;; [unrolled: 1-line block ×5, first 2 shown]
	s_and_saveexec_b32 s0, vcc_lo
	s_cbranch_execz .LBB0_7
; %bb.6:
	ds_write_b128 v208, v[56:59]
	ds_write_b128 v208, v[60:63] offset:16
.LBB0_7:
	s_or_b32 exec_lo, exec_lo, s0
	s_waitcnt lgkmcnt(0)
	s_barrier
	buffer_gl0_inv
	ds_read_b128 v[68:71], v201
	ds_read_b128 v[64:67], v201 offset:1760
	ds_read_b128 v[96:99], v201 offset:3872
	;; [unrolled: 1-line block ×9, first 2 shown]
	v_cmp_gt_u16_e64 s0, 22, v202
                                        ; implicit-def: $vgpr104_vgpr105
                                        ; implicit-def: $vgpr108_vgpr109
                                        ; implicit-def: $vgpr112_vgpr113
	s_and_saveexec_b32 s1, s0
	s_cbranch_execz .LBB0_9
; %bb.8:
	ds_read_b128 v[56:59], v201 offset:3520
	ds_read_b128 v[60:63], v201 offset:7392
	;; [unrolled: 1-line block ×5, first 2 shown]
.LBB0_9:
	s_or_b32 exec_lo, exec_lo, s1
	v_and_b32_e32 v203, 1, v202
	v_lshrrev_b32_e32 v187, 1, v117
	v_lshrrev_b32_e32 v165, 1, v202
	s_mov_b32 s12, 0x134454ff
	s_mov_b32 s13, 0x3fee6f0e
	v_lshlrev_b32_e32 v44, 6, v203
	s_mov_b32 s19, 0xbfee6f0e
	v_mul_u32_u24_e32 v204, 10, v165
	s_mov_b32 s18, s12
	s_mov_b32 s4, 0x4755a5e
	s_clause 0x3
	global_load_dwordx4 v[40:43], v44, s[14:15]
	global_load_dwordx4 v[52:55], v44, s[14:15] offset:16
	global_load_dwordx4 v[48:51], v44, s[14:15] offset:32
	;; [unrolled: 1-line block ×3, first 2 shown]
	s_mov_b32 s5, 0x3fe2cf23
	s_mov_b32 s17, 0xbfe2cf23
	;; [unrolled: 1-line block ×5, first 2 shown]
	s_waitcnt vmcnt(0) lgkmcnt(0)
	s_barrier
	buffer_gl0_inv
	v_mul_f64 v[117:118], v[98:99], v[42:43]
	v_mul_f64 v[119:120], v[96:97], v[42:43]
	;; [unrolled: 1-line block ×24, first 2 shown]
	v_fma_f64 v[96:97], v[96:97], v[40:41], -v[117:118]
	v_fma_f64 v[98:99], v[98:99], v[40:41], v[119:120]
	v_fma_f64 v[100:101], v[100:101], v[52:53], -v[121:122]
	v_fma_f64 v[102:103], v[102:103], v[52:53], v[123:124]
	;; [unrolled: 2-line block ×3, first 2 shown]
	v_fma_f64 v[90:91], v[90:91], v[48:49], v[127:128]
	v_fma_f64 v[92:93], v[92:93], v[44:45], -v[129:130]
	v_fma_f64 v[117:118], v[72:73], v[40:41], -v[133:134]
	v_fma_f64 v[119:120], v[74:75], v[40:41], v[135:136]
	v_fma_f64 v[121:122], v[76:77], v[52:53], -v[137:138]
	v_fma_f64 v[123:124], v[78:79], v[52:53], v[139:140]
	;; [unrolled: 2-line block ×8, first 2 shown]
	v_add_f64 v[104:105], v[68:69], v[96:97]
	v_add_f64 v[112:113], v[96:97], -v[100:101]
	v_add_f64 v[106:107], v[100:101], v[88:89]
	v_add_f64 v[108:109], v[98:99], -v[94:95]
	v_add_f64 v[131:132], v[100:101], -v[96:97]
	;; [unrolled: 1-line block ×3, first 2 shown]
	v_add_f64 v[129:130], v[96:97], v[92:93]
	v_add_f64 v[133:134], v[88:89], -v[92:93]
	v_add_f64 v[135:136], v[70:71], v[98:99]
	v_add_f64 v[137:138], v[102:103], v[90:91]
	v_add_f64 v[141:142], v[98:99], -v[102:103]
	v_add_f64 v[143:144], v[94:95], -v[90:91]
	v_add_f64 v[145:146], v[98:99], v[94:95]
	v_add_f64 v[98:99], v[102:103], -v[98:99]
	v_add_f64 v[147:148], v[90:91], -v[94:95]
	v_add_f64 v[149:150], v[64:65], v[117:118]
	v_add_f64 v[151:152], v[121:122], v[125:126]
	v_add_f64 v[153:154], v[119:120], -v[86:87]
	v_add_f64 v[157:158], v[117:118], -v[121:122]
	;; [unrolled: 1-line block ×3, first 2 shown]
	v_add_f64 v[161:162], v[117:118], v[84:85]
	v_add_f64 v[167:168], v[66:67], v[119:120]
	v_add_f64 v[173:174], v[119:120], -v[123:124]
	v_add_f64 v[177:178], v[119:120], v[86:87]
	v_add_f64 v[119:120], v[123:124], -v[119:120]
	v_add_f64 v[179:180], v[127:128], -v[86:87]
	v_add_f64 v[181:182], v[62:63], v[72:73]
	v_add_f64 v[190:191], v[60:61], v[74:75]
	v_add_f64 v[199:200], v[76:77], v[78:79]
	v_add_f64 v[214:215], v[82:83], v[80:81]
	v_add_f64 v[169:170], v[123:124], v[127:128]
	v_add_f64 v[110:111], v[102:103], -v[90:91]
	v_add_f64 v[96:97], v[96:97], -v[92:93]
	;; [unrolled: 1-line block ×13, first 2 shown]
	v_fma_f64 v[106:107], v[106:107], -0.5, v[68:69]
	v_fma_f64 v[68:69], v[129:130], -0.5, v[68:69]
	;; [unrolled: 1-line block ×4, first 2 shown]
	v_add_f64 v[100:101], v[104:105], v[100:101]
	v_add_f64 v[104:105], v[112:113], v[114:115]
	;; [unrolled: 1-line block ×8, first 2 shown]
	v_fma_f64 v[135:136], v[151:152], -0.5, v[64:65]
	v_fma_f64 v[64:65], v[161:162], -0.5, v[64:65]
	v_add_f64 v[143:144], v[119:120], v[179:180]
	v_fma_f64 v[119:120], v[181:182], -0.5, v[56:57]
	v_fma_f64 v[147:148], v[190:191], -0.5, v[56:57]
	;; [unrolled: 1-line block ×4, first 2 shown]
	v_add_f64 v[117:118], v[117:118], -v[84:85]
	v_add_f64 v[123:124], v[167:168], v[123:124]
	v_fma_f64 v[137:138], v[169:170], -0.5, v[66:67]
	v_add_f64 v[175:176], v[86:87], -v[127:128]
	v_fma_f64 v[66:67], v[177:178], -0.5, v[66:67]
	v_add_f64 v[192:193], v[62:63], -v[60:61]
	v_add_f64 v[194:195], v[72:73], -v[74:75]
	;; [unrolled: 1-line block ×6, first 2 shown]
	v_add_f64 v[133:134], v[163:164], v[165:166]
	v_add_f64 v[145:146], v[183:184], v[185:186]
	;; [unrolled: 1-line block ×3, first 2 shown]
	v_fma_f64 v[100:101], v[108:109], s[12:13], v[106:107]
	v_fma_f64 v[106:107], v[108:109], s[18:19], v[106:107]
	v_fma_f64 v[163:164], v[110:111], s[18:19], v[68:69]
	v_fma_f64 v[68:69], v[110:111], s[12:13], v[68:69]
	v_add_f64 v[90:91], v[102:103], v[90:91]
	v_fma_f64 v[102:103], v[96:97], s[18:19], v[129:130]
	v_fma_f64 v[129:130], v[96:97], s[12:13], v[129:130]
	;; [unrolled: 1-line block ×4, first 2 shown]
	v_add_f64 v[121:122], v[121:122], v[125:126]
	v_fma_f64 v[125:126], v[153:154], s[12:13], v[135:136]
	v_fma_f64 v[135:136], v[153:154], s[18:19], v[135:136]
	;; [unrolled: 1-line block ×12, first 2 shown]
	v_add_f64 v[123:124], v[123:124], v[127:128]
	v_fma_f64 v[127:128], v[117:118], s[18:19], v[137:138]
	v_add_f64 v[141:142], v[173:174], v[175:176]
	v_fma_f64 v[137:138], v[117:118], s[12:13], v[137:138]
	v_fma_f64 v[173:174], v[171:172], s[12:13], v[66:67]
	v_fma_f64 v[175:176], v[171:172], s[18:19], v[66:67]
	v_add_f64 v[149:150], v[192:193], v[194:195]
	v_add_f64 v[157:158], v[209:210], v[212:213]
	;; [unrolled: 1-line block ×4, first 2 shown]
	v_fma_f64 v[88:89], v[110:111], s[4:5], v[100:101]
	v_fma_f64 v[92:93], v[110:111], s[16:17], v[106:107]
	;; [unrolled: 1-line block ×4, first 2 shown]
	v_add_f64 v[66:67], v[90:91], v[94:95]
	v_fma_f64 v[90:91], v[139:140], s[16:17], v[102:103]
	v_fma_f64 v[94:95], v[139:140], s[4:5], v[129:130]
	;; [unrolled: 1-line block ×16, first 2 shown]
	v_add_f64 v[70:71], v[123:124], v[86:87]
	v_fma_f64 v[123:124], v[171:172], s[16:17], v[127:128]
	v_fma_f64 v[127:128], v[171:172], s[4:5], v[137:138]
	;; [unrolled: 1-line block ×4, first 2 shown]
	v_add_f64 v[68:69], v[121:122], v[84:85]
	v_fma_f64 v[84:85], v[104:105], s[2:3], v[88:89]
	v_fma_f64 v[88:89], v[104:105], s[2:3], v[92:93]
	;; [unrolled: 1-line block ×23, first 2 shown]
	v_mul_u32_u24_e32 v133, 10, v187
	v_fma_f64 v[131:132], v[143:144], s[2:3], v[137:138]
	v_or_b32_e32 v134, v204, v203
	v_lshrrev_b32_e32 v204, 1, v116
	v_or_b32_e32 v116, v133, v203
	v_lshlrev_b32_e32 v210, 4, v134
	v_lshlrev_b32_e32 v209, 4, v116
	ds_write_b128 v210, v[64:67]
	ds_write_b128 v210, v[84:87] offset:32
	ds_write_b128 v210, v[104:107] offset:64
	;; [unrolled: 1-line block ×4, first 2 shown]
	ds_write_b128 v209, v[68:71]
	ds_write_b128 v209, v[117:120] offset:32
	ds_write_b128 v209, v[125:128] offset:64
	ds_write_b128 v209, v[129:132] offset:96
	ds_write_b128 v209, v[121:124] offset:128
	s_and_saveexec_b32 s1, s0
	s_cbranch_execz .LBB0_11
; %bb.10:
	v_add_f64 v[58:59], v[58:59], v[82:83]
	v_add_f64 v[56:57], v[56:57], v[60:61]
	v_mul_u32_u24_e32 v60, 10, v204
	v_or_b32_e32 v60, v60, v203
	v_lshlrev_b32_e32 v60, 4, v60
	v_add_f64 v[58:59], v[58:59], v[76:77]
	v_add_f64 v[56:57], v[56:57], v[62:63]
	;; [unrolled: 1-line block ×6, first 2 shown]
	ds_write_b128 v60, v[108:111] offset:32
	ds_write_b128 v60, v[92:95] offset:64
	;; [unrolled: 1-line block ×3, first 2 shown]
	ds_write_b128 v60, v[56:59]
	ds_write_b128 v60, v[100:103] offset:128
.LBB0_11:
	s_or_b32 exec_lo, exec_lo, s1
	v_and_b32_e32 v56, 0xff, v202
	s_waitcnt lgkmcnt(0)
	s_barrier
	buffer_gl0_inv
	ds_read_b128 v[116:119], v201
	ds_read_b128 v[68:71], v201 offset:1760
	ds_read_b128 v[72:75], v201 offset:3520
	;; [unrolled: 1-line block ×10, first 2 shown]
	v_mul_lo_u16 v56, 0xcd, v56
	s_mov_b32 s26, 0xf8bb580b
	s_mov_b32 s36, 0x8eee2c13
	;; [unrolled: 1-line block ×4, first 2 shown]
	v_lshrrev_b16 v160, 11, v56
	s_mov_b32 s22, 0xfd768dbf
	s_mov_b32 s27, 0xbfe14ced
	s_mov_b32 s37, 0xbfed1bb4
	s_mov_b32 s5, 0xbfefac9e
	v_mul_lo_u16 v56, v160, 10
	s_mov_b32 s21, 0xbfe82f19
	s_mov_b32 s23, 0xbfd207e7
	s_mov_b32 s16, 0x8764f0ba
	s_mov_b32 s12, 0xd9c712b6
	v_sub_nc_u16 v56, v202, v56
	s_mov_b32 s2, 0x640f44db
	s_mov_b32 s18, 0x7f775887
	;; [unrolled: 1-line block ×4, first 2 shown]
	v_and_b32_e32 v161, 0xff, v56
	s_mov_b32 s13, 0x3fda9628
	s_mov_b32 s3, 0xbfc2375f
	;; [unrolled: 1-line block ×4, first 2 shown]
	v_mad_u64_u32 v[162:163], null, 0xa0, v161, s[14:15]
	s_mov_b32 s39, 0x3fd207e7
	s_mov_b32 s38, s22
	;; [unrolled: 1-line block ×6, first 2 shown]
	s_clause 0x3
	global_load_dwordx4 v[56:59], v[162:163], off offset:176
	global_load_dwordx4 v[60:63], v[162:163], off offset:160
	;; [unrolled: 1-line block ×4, first 2 shown]
	s_mov_b32 s31, 0x3fed1bb4
	s_mov_b32 s30, s36
	s_waitcnt vmcnt(0) lgkmcnt(9)
	v_mul_f64 v[120:121], v[70:71], v[82:83]
	v_fma_f64 v[164:165], v[68:69], v[80:81], -v[120:121]
	v_mul_f64 v[68:69], v[68:69], v[82:83]
	v_fma_f64 v[166:167], v[70:71], v[80:81], v[68:69]
	s_waitcnt lgkmcnt(8)
	v_mul_f64 v[68:69], v[74:75], v[66:67]
	v_fma_f64 v[144:145], v[72:73], v[64:65], -v[68:69]
	v_mul_f64 v[68:69], v[72:73], v[66:67]
	v_fma_f64 v[142:143], v[74:75], v[64:65], v[68:69]
	s_waitcnt lgkmcnt(7)
	;; [unrolled: 5-line block ×3, first 2 shown]
	v_mul_f64 v[68:69], v[86:87], v[58:59]
	v_fma_f64 v[132:133], v[84:85], v[56:57], -v[68:69]
	v_mul_f64 v[68:69], v[84:85], v[58:59]
	v_fma_f64 v[124:125], v[86:87], v[56:57], v[68:69]
	s_clause 0x3
	global_load_dwordx4 v[76:79], v[162:163], off offset:240
	global_load_dwordx4 v[72:75], v[162:163], off offset:224
	;; [unrolled: 1-line block ×4, first 2 shown]
	s_waitcnt vmcnt(0) lgkmcnt(5)
	v_mul_f64 v[120:121], v[90:91], v[86:87]
	v_fma_f64 v[126:127], v[88:89], v[84:85], -v[120:121]
	v_mul_f64 v[88:89], v[88:89], v[86:87]
	v_fma_f64 v[120:121], v[90:91], v[84:85], v[88:89]
	s_waitcnt lgkmcnt(4)
	v_mul_f64 v[88:89], v[106:107], v[70:71]
	v_fma_f64 v[128:129], v[104:105], v[68:69], -v[88:89]
	v_mul_f64 v[88:89], v[104:105], v[70:71]
	v_fma_f64 v[122:123], v[106:107], v[68:69], v[88:89]
	s_waitcnt lgkmcnt(3)
	;; [unrolled: 5-line block ×3, first 2 shown]
	v_mul_f64 v[88:89], v[150:151], v[78:79]
	v_add_f64 v[114:115], v[118:119], v[166:167]
	v_fma_f64 v[146:147], v[148:149], v[76:77], -v[88:89]
	v_mul_f64 v[88:89], v[148:149], v[78:79]
	v_add_f64 v[114:115], v[114:115], v[142:143]
	v_fma_f64 v[138:139], v[150:151], v[76:77], v[88:89]
	s_clause 0x1
	global_load_dwordx4 v[88:91], v[162:163], off offset:272
	global_load_dwordx4 v[104:107], v[162:163], off offset:256
	v_add_f64 v[114:115], v[114:115], v[134:135]
	s_waitcnt vmcnt(0) lgkmcnt(0)
	s_barrier
	buffer_gl0_inv
	v_add_f64 v[114:115], v[114:115], v[124:125]
	v_add_f64 v[114:115], v[114:115], v[120:121]
	;; [unrolled: 1-line block ×5, first 2 shown]
	v_mul_f64 v[112:113], v[154:155], v[106:107]
	v_fma_f64 v[148:149], v[152:153], v[104:105], -v[112:113]
	v_mul_f64 v[112:113], v[152:153], v[106:107]
	v_fma_f64 v[150:151], v[154:155], v[104:105], v[112:113]
	v_mul_f64 v[112:113], v[158:159], v[90:91]
	v_add_f64 v[114:115], v[114:115], v[150:151]
	v_fma_f64 v[152:153], v[156:157], v[88:89], -v[112:113]
	v_mul_f64 v[112:113], v[156:157], v[90:91]
	v_add_f64 v[156:157], v[164:165], v[152:153]
	v_fma_f64 v[154:155], v[158:159], v[88:89], v[112:113]
	v_add_f64 v[112:113], v[116:117], v[164:165]
	v_add_f64 v[114:115], v[114:115], v[154:155]
	;; [unrolled: 1-line block ×4, first 2 shown]
	v_add_f64 v[154:155], v[166:167], -v[154:155]
	v_add_f64 v[112:113], v[112:113], v[140:141]
	v_mul_f64 v[162:163], v[154:155], s[26:27]
	v_mul_f64 v[170:171], v[154:155], s[36:37]
	;; [unrolled: 1-line block ×5, first 2 shown]
	v_add_f64 v[112:113], v[112:113], v[132:133]
	v_fma_f64 v[172:173], v[156:157], s[12:13], -v[170:171]
	v_fma_f64 v[170:171], v[156:157], s[12:13], v[170:171]
	v_fma_f64 v[180:181], v[156:157], s[2:3], -v[178:179]
	v_fma_f64 v[178:179], v[156:157], s[2:3], v[178:179]
	;; [unrolled: 2-line block ×4, first 2 shown]
	v_add_f64 v[112:113], v[112:113], v[126:127]
	v_add_f64 v[172:173], v[116:117], v[172:173]
	;; [unrolled: 1-line block ×13, first 2 shown]
	v_add_f64 v[152:153], v[164:165], -v[152:153]
	v_fma_f64 v[164:165], v[156:157], s[16:17], -v[162:163]
	v_fma_f64 v[162:163], v[156:157], s[16:17], v[162:163]
	v_mul_f64 v[166:167], v[152:153], s[26:27]
	v_mul_f64 v[174:175], v[152:153], s[36:37]
	;; [unrolled: 1-line block ×5, first 2 shown]
	v_add_f64 v[164:165], v[116:117], v[164:165]
	v_add_f64 v[162:163], v[116:117], v[162:163]
	;; [unrolled: 1-line block ×4, first 2 shown]
	v_add_f64 v[142:143], v[142:143], -v[150:151]
	v_fma_f64 v[168:169], v[158:159], s[16:17], v[166:167]
	v_fma_f64 v[166:167], v[158:159], s[16:17], -v[166:167]
	v_fma_f64 v[176:177], v[158:159], s[12:13], v[174:175]
	v_fma_f64 v[174:175], v[158:159], s[12:13], -v[174:175]
	;; [unrolled: 2-line block ×5, first 2 shown]
	v_add_f64 v[168:169], v[118:119], v[168:169]
	v_add_f64 v[166:167], v[118:119], v[166:167]
	;; [unrolled: 1-line block ×11, first 2 shown]
	v_add_f64 v[144:145], v[144:145], -v[148:149]
	v_mul_f64 v[148:149], v[142:143], s[36:37]
	v_mul_f64 v[156:157], v[144:145], s[36:37]
	v_fma_f64 v[150:151], v[152:153], s[12:13], -v[148:149]
	v_fma_f64 v[148:149], v[152:153], s[12:13], v[148:149]
	v_fma_f64 v[158:159], v[154:155], s[12:13], v[156:157]
	v_add_f64 v[150:151], v[150:151], v[164:165]
	v_add_f64 v[148:149], v[148:149], v[162:163]
	v_mul_f64 v[162:163], v[142:143], s[20:21]
	v_fma_f64 v[156:157], v[154:155], s[12:13], -v[156:157]
	v_add_f64 v[158:159], v[158:159], v[168:169]
	v_fma_f64 v[164:165], v[152:153], s[18:19], -v[162:163]
	v_fma_f64 v[162:163], v[152:153], s[18:19], v[162:163]
	v_add_f64 v[156:157], v[156:157], v[166:167]
	v_mul_f64 v[166:167], v[144:145], s[20:21]
	v_add_f64 v[164:165], v[164:165], v[172:173]
	v_add_f64 v[162:163], v[162:163], v[170:171]
	v_mul_f64 v[170:171], v[142:143], s[38:39]
	v_fma_f64 v[168:169], v[154:155], s[18:19], v[166:167]
	v_fma_f64 v[166:167], v[154:155], s[18:19], -v[166:167]
	v_fma_f64 v[172:173], v[152:153], s[24:25], -v[170:171]
	v_fma_f64 v[170:171], v[152:153], s[24:25], v[170:171]
	v_add_f64 v[166:167], v[166:167], v[174:175]
	v_mul_f64 v[174:175], v[144:145], s[38:39]
	v_add_f64 v[168:169], v[168:169], v[176:177]
	v_add_f64 v[172:173], v[172:173], v[180:181]
	;; [unrolled: 1-line block ×3, first 2 shown]
	v_mul_f64 v[178:179], v[142:143], s[34:35]
	v_fma_f64 v[176:177], v[154:155], s[24:25], v[174:175]
	v_fma_f64 v[174:175], v[154:155], s[24:25], -v[174:175]
	v_mul_f64 v[142:143], v[142:143], s[28:29]
	v_fma_f64 v[180:181], v[152:153], s[2:3], -v[178:179]
	v_fma_f64 v[178:179], v[152:153], s[2:3], v[178:179]
	v_add_f64 v[174:175], v[174:175], v[182:183]
	v_mul_f64 v[182:183], v[144:145], s[34:35]
	v_mul_f64 v[144:145], v[144:145], s[28:29]
	v_add_f64 v[176:177], v[176:177], v[184:185]
	v_add_f64 v[180:181], v[180:181], v[190:191]
	v_add_f64 v[178:179], v[178:179], v[186:187]
	v_fma_f64 v[186:187], v[152:153], s[16:17], -v[142:143]
	v_fma_f64 v[142:143], v[152:153], s[16:17], v[142:143]
	v_fma_f64 v[190:191], v[154:155], s[16:17], v[144:145]
	;; [unrolled: 1-line block ×3, first 2 shown]
	v_fma_f64 v[182:183], v[154:155], s[2:3], -v[182:183]
	v_add_f64 v[186:187], v[186:187], v[199:200]
	v_add_f64 v[116:117], v[142:143], v[116:117]
	v_fma_f64 v[142:143], v[154:155], s[16:17], -v[144:145]
	v_add_f64 v[144:145], v[134:135], v[138:139]
	v_add_f64 v[134:135], v[134:135], -v[138:139]
	v_add_f64 v[182:183], v[182:183], v[192:193]
	v_add_f64 v[190:191], v[190:191], v[212:213]
	;; [unrolled: 1-line block ×5, first 2 shown]
	v_mul_f64 v[138:139], v[134:135], s[4:5]
	v_add_f64 v[140:141], v[140:141], -v[146:147]
	v_fma_f64 v[146:147], v[142:143], s[2:3], -v[138:139]
	v_fma_f64 v[138:139], v[142:143], s[2:3], v[138:139]
	v_add_f64 v[146:147], v[146:147], v[150:151]
	v_mul_f64 v[150:151], v[140:141], s[4:5]
	v_add_f64 v[138:139], v[138:139], v[148:149]
	v_fma_f64 v[152:153], v[144:145], s[2:3], v[150:151]
	v_fma_f64 v[148:149], v[144:145], s[2:3], -v[150:151]
	v_mul_f64 v[150:151], v[134:135], s[38:39]
	v_add_f64 v[152:153], v[152:153], v[158:159]
	v_add_f64 v[148:149], v[148:149], v[156:157]
	v_fma_f64 v[154:155], v[142:143], s[24:25], -v[150:151]
	v_fma_f64 v[150:151], v[142:143], s[24:25], v[150:151]
	v_mul_f64 v[156:157], v[140:141], s[38:39]
	v_add_f64 v[154:155], v[154:155], v[164:165]
	v_add_f64 v[150:151], v[150:151], v[162:163]
	v_mul_f64 v[162:163], v[134:135], s[30:31]
	v_fma_f64 v[158:159], v[144:145], s[24:25], v[156:157]
	v_fma_f64 v[156:157], v[144:145], s[24:25], -v[156:157]
	v_fma_f64 v[164:165], v[142:143], s[12:13], -v[162:163]
	v_fma_f64 v[162:163], v[142:143], s[12:13], v[162:163]
	v_add_f64 v[156:157], v[156:157], v[166:167]
	v_mul_f64 v[166:167], v[140:141], s[30:31]
	v_add_f64 v[158:159], v[158:159], v[168:169]
	v_add_f64 v[164:165], v[164:165], v[172:173]
	;; [unrolled: 1-line block ×3, first 2 shown]
	v_mul_f64 v[170:171], v[134:135], s[26:27]
	v_fma_f64 v[168:169], v[144:145], s[12:13], v[166:167]
	v_fma_f64 v[166:167], v[144:145], s[12:13], -v[166:167]
	v_mul_f64 v[134:135], v[134:135], s[20:21]
	v_fma_f64 v[172:173], v[142:143], s[16:17], -v[170:171]
	v_fma_f64 v[170:171], v[142:143], s[16:17], v[170:171]
	v_add_f64 v[166:167], v[166:167], v[174:175]
	v_mul_f64 v[174:175], v[140:141], s[26:27]
	v_mul_f64 v[140:141], v[140:141], s[20:21]
	v_add_f64 v[168:169], v[168:169], v[176:177]
	v_add_f64 v[172:173], v[172:173], v[180:181]
	;; [unrolled: 1-line block ×3, first 2 shown]
	v_fma_f64 v[178:179], v[142:143], s[18:19], -v[134:135]
	v_fma_f64 v[134:135], v[142:143], s[18:19], v[134:135]
	v_add_f64 v[142:143], v[124:125], v[130:131]
	v_add_f64 v[124:125], v[124:125], -v[130:131]
	v_fma_f64 v[176:177], v[144:145], s[16:17], v[174:175]
	v_fma_f64 v[174:175], v[144:145], s[16:17], -v[174:175]
	v_fma_f64 v[180:181], v[144:145], s[18:19], v[140:141]
	v_add_f64 v[178:179], v[178:179], v[186:187]
	v_add_f64 v[116:117], v[134:135], v[116:117]
	v_fma_f64 v[134:135], v[144:145], s[18:19], -v[140:141]
	v_mul_f64 v[130:131], v[124:125], s[20:21]
	v_add_f64 v[176:177], v[176:177], v[184:185]
	v_add_f64 v[174:175], v[174:175], v[182:183]
	;; [unrolled: 1-line block ×5, first 2 shown]
	v_add_f64 v[132:133], v[132:133], -v[136:137]
	v_fma_f64 v[136:137], v[134:135], s[18:19], -v[130:131]
	v_fma_f64 v[130:131], v[134:135], s[18:19], v[130:131]
	v_add_f64 v[182:183], v[136:137], v[146:147]
	v_mul_f64 v[136:137], v[132:133], s[20:21]
	v_add_f64 v[130:131], v[130:131], v[138:139]
	v_fma_f64 v[140:141], v[142:143], s[18:19], v[136:137]
	v_fma_f64 v[136:137], v[142:143], s[18:19], -v[136:137]
	v_add_f64 v[184:185], v[140:141], v[152:153]
	v_add_f64 v[186:187], v[136:137], v[148:149]
	v_mul_f64 v[136:137], v[124:125], s[34:35]
	v_fma_f64 v[138:139], v[134:135], s[2:3], -v[136:137]
	v_fma_f64 v[136:137], v[134:135], s[2:3], v[136:137]
	v_add_f64 v[190:191], v[138:139], v[154:155]
	v_mul_f64 v[138:139], v[132:133], s[34:35]
	v_add_f64 v[194:195], v[136:137], v[150:151]
	v_fma_f64 v[136:137], v[142:143], s[2:3], -v[138:139]
	v_fma_f64 v[140:141], v[142:143], s[2:3], v[138:139]
	v_add_f64 v[199:200], v[136:137], v[156:157]
	v_mul_f64 v[136:137], v[124:125], s[26:27]
	v_add_f64 v[192:193], v[140:141], v[158:159]
	v_add_f64 v[158:159], v[120:121], -v[122:123]
	v_fma_f64 v[138:139], v[134:135], s[16:17], -v[136:137]
	v_fma_f64 v[136:137], v[134:135], s[16:17], v[136:137]
	v_add_f64 v[164:165], v[138:139], v[164:165]
	v_mul_f64 v[138:139], v[132:133], s[26:27]
	v_add_f64 v[156:157], v[136:137], v[162:163]
	v_fma_f64 v[136:137], v[142:143], s[16:17], -v[138:139]
	v_fma_f64 v[140:141], v[142:143], s[16:17], v[138:139]
	v_add_f64 v[154:155], v[136:137], v[166:167]
	v_mul_f64 v[136:137], v[124:125], s[22:23]
	v_mul_f64 v[124:125], v[124:125], s[30:31]
	v_add_f64 v[168:169], v[140:141], v[168:169]
	v_mul_f64 v[166:167], v[158:159], s[20:21]
	v_fma_f64 v[138:139], v[134:135], s[24:25], -v[136:137]
	v_fma_f64 v[136:137], v[134:135], s[24:25], v[136:137]
	v_add_f64 v[150:151], v[138:139], v[172:173]
	v_mul_f64 v[138:139], v[132:133], s[22:23]
	v_add_f64 v[148:149], v[136:137], v[170:171]
	v_mul_f64 v[132:133], v[132:133], s[30:31]
	v_fma_f64 v[136:137], v[142:143], s[24:25], -v[138:139]
	v_fma_f64 v[140:141], v[142:143], s[24:25], v[138:139]
	v_add_f64 v[138:139], v[126:127], v[128:129]
	v_add_f64 v[146:147], v[136:137], v[174:175]
	v_fma_f64 v[136:137], v[134:135], s[12:13], -v[124:125]
	v_fma_f64 v[124:125], v[134:135], s[12:13], v[124:125]
	v_add_f64 v[152:153], v[140:141], v[176:177]
	v_add_f64 v[134:135], v[120:121], v[122:123]
	v_fma_f64 v[162:163], v[138:139], s[18:19], -v[166:167]
	v_fma_f64 v[166:167], v[138:139], s[18:19], v[166:167]
	v_mul_f64 v[120:121], v[158:159], s[22:23]
	v_add_f64 v[144:145], v[136:137], v[178:179]
	v_fma_f64 v[136:137], v[142:143], s[12:13], v[132:133]
	v_add_f64 v[162:163], v[162:163], v[164:165]
	v_add_f64 v[166:167], v[166:167], v[156:157]
	;; [unrolled: 1-line block ×4, first 2 shown]
	v_fma_f64 v[116:117], v[142:143], s[12:13], -v[132:133]
	v_add_f64 v[142:143], v[126:127], -v[128:129]
	v_mul_f64 v[128:129], v[158:159], s[28:29]
	v_add_f64 v[132:133], v[116:117], v[118:119]
	v_mul_f64 v[170:171], v[142:143], s[20:21]
	v_fma_f64 v[116:117], v[138:139], s[24:25], -v[120:121]
	v_fma_f64 v[120:121], v[138:139], s[24:25], v[120:121]
	v_mul_f64 v[122:123], v[142:143], s[22:23]
	v_fma_f64 v[124:125], v[138:139], s[16:17], -v[128:129]
	v_fma_f64 v[128:129], v[138:139], s[16:17], v[128:129]
	v_fma_f64 v[164:165], v[134:135], s[18:19], v[170:171]
	v_fma_f64 v[156:157], v[134:135], s[18:19], -v[170:171]
	v_add_f64 v[120:121], v[120:121], v[130:131]
	v_mul_f64 v[130:131], v[142:143], s[28:29]
	v_fma_f64 v[118:119], v[134:135], s[24:25], v[122:123]
	v_fma_f64 v[122:123], v[134:135], s[24:25], -v[122:123]
	v_add_f64 v[116:117], v[116:117], v[182:183]
	v_add_f64 v[124:125], v[124:125], v[190:191]
	;; [unrolled: 1-line block ×3, first 2 shown]
	v_mad_u64_u32 v[194:195], null, 0xa0, v202, s[14:15]
	v_add_f64 v[164:165], v[164:165], v[168:169]
	v_add_f64 v[168:169], v[156:157], v[154:155]
	v_mul_f64 v[154:155], v[158:159], s[30:31]
	v_fma_f64 v[126:127], v[134:135], s[16:17], v[130:131]
	v_fma_f64 v[130:131], v[134:135], s[16:17], -v[130:131]
	v_add_f64 v[118:119], v[118:119], v[184:185]
	v_add_f64 v[122:123], v[122:123], v[186:187]
	v_fma_f64 v[156:157], v[138:139], s[12:13], -v[154:155]
	v_fma_f64 v[154:155], v[138:139], s[12:13], v[154:155]
	v_add_f64 v[126:127], v[126:127], v[192:193]
	v_add_f64 v[130:131], v[130:131], v[199:200]
	;; [unrolled: 1-line block ×3, first 2 shown]
	v_mul_f64 v[156:157], v[142:143], s[30:31]
	v_add_f64 v[154:155], v[154:155], v[148:149]
	v_mul_f64 v[142:143], v[142:143], s[4:5]
	v_fma_f64 v[148:149], v[134:135], s[12:13], -v[156:157]
	v_fma_f64 v[170:171], v[134:135], s[12:13], v[156:157]
	v_add_f64 v[156:157], v[148:149], v[146:147]
	v_mul_f64 v[148:149], v[158:159], s[4:5]
	v_add_f64 v[152:153], v[170:171], v[152:153]
	v_fma_f64 v[146:147], v[138:139], s[2:3], -v[148:149]
	v_fma_f64 v[138:139], v[138:139], s[2:3], v[148:149]
	v_add_f64 v[144:145], v[146:147], v[144:145]
	v_fma_f64 v[146:147], v[134:135], s[2:3], v[142:143]
	v_fma_f64 v[134:135], v[134:135], s[2:3], -v[142:143]
	v_add_f64 v[136:137], v[138:139], v[136:137]
	v_add_f64 v[146:147], v[146:147], v[140:141]
	;; [unrolled: 1-line block ×3, first 2 shown]
	v_mov_b32_e32 v132, 0x6e
	v_mul_u32_u24_sdwa v132, v160, v132 dst_sel:DWORD dst_unused:UNUSED_PAD src0_sel:WORD_0 src1_sel:DWORD
	v_add_lshl_u32 v212, v132, v161, 4
	ds_write_b128 v212, v[112:115]
	ds_write_b128 v212, v[116:119] offset:160
	ds_write_b128 v212, v[124:127] offset:320
	;; [unrolled: 1-line block ×10, first 2 shown]
	s_waitcnt lgkmcnt(0)
	s_barrier
	buffer_gl0_inv
	ds_read_b128 v[152:155], v201
	ds_read_b128 v[112:115], v201 offset:1760
	ds_read_b128 v[116:119], v201 offset:3520
	;; [unrolled: 1-line block ×10, first 2 shown]
	s_clause 0x3
	global_load_dwordx4 v[120:123], v[194:195], off offset:1776
	global_load_dwordx4 v[124:127], v[194:195], off offset:1760
	;; [unrolled: 1-line block ×4, first 2 shown]
	s_waitcnt vmcnt(0) lgkmcnt(9)
	v_mul_f64 v[160:161], v[114:115], v[142:143]
	v_fma_f64 v[199:200], v[112:113], v[140:141], -v[160:161]
	v_mul_f64 v[112:113], v[112:113], v[142:143]
	v_fma_f64 v[221:222], v[114:115], v[140:141], v[112:113]
	s_waitcnt lgkmcnt(8)
	v_mul_f64 v[112:113], v[118:119], v[130:131]
	v_fma_f64 v[186:187], v[116:117], v[128:129], -v[112:113]
	v_mul_f64 v[112:113], v[116:117], v[130:131]
	v_fma_f64 v[184:185], v[118:119], v[128:129], v[112:113]
	s_waitcnt lgkmcnt(7)
	;; [unrolled: 5-line block ×3, first 2 shown]
	v_mul_f64 v[112:113], v[138:139], v[122:123]
	v_fma_f64 v[172:173], v[136:137], v[120:121], -v[112:113]
	v_mul_f64 v[112:113], v[136:137], v[122:123]
	v_fma_f64 v[168:169], v[138:139], v[120:121], v[112:113]
	s_clause 0x3
	global_load_dwordx4 v[112:115], v[194:195], off offset:1840
	global_load_dwordx4 v[116:119], v[194:195], off offset:1824
	;; [unrolled: 1-line block ×4, first 2 shown]
	s_waitcnt vmcnt(0) lgkmcnt(5)
	v_mul_f64 v[160:161], v[146:147], v[138:139]
	v_fma_f64 v[164:165], v[144:145], v[136:137], -v[160:161]
	v_mul_f64 v[144:145], v[144:145], v[138:139]
	v_fma_f64 v[160:161], v[146:147], v[136:137], v[144:145]
	s_waitcnt lgkmcnt(4)
	v_mul_f64 v[144:145], v[150:151], v[134:135]
	v_fma_f64 v[166:167], v[148:149], v[132:133], -v[144:145]
	v_mul_f64 v[144:145], v[148:149], v[134:135]
	v_fma_f64 v[162:163], v[150:151], v[132:133], v[144:145]
	s_waitcnt lgkmcnt(3)
	v_mul_f64 v[144:145], v[158:159], v[118:119]
	v_fma_f64 v[174:175], v[156:157], v[116:117], -v[144:145]
	v_mul_f64 v[144:145], v[156:157], v[118:119]
	v_fma_f64 v[170:171], v[158:159], v[116:117], v[144:145]
	s_waitcnt lgkmcnt(2)
	v_mul_f64 v[144:145], v[192:193], v[114:115]
	v_add_f64 v[158:159], v[154:155], v[221:222]
	v_fma_f64 v[182:183], v[190:191], v[112:113], -v[144:145]
	v_mul_f64 v[144:145], v[190:191], v[114:115]
	v_add_f64 v[158:159], v[158:159], v[184:185]
	v_fma_f64 v[178:179], v[192:193], v[112:113], v[144:145]
	s_clause 0x1
	global_load_dwordx4 v[144:147], v[194:195], off offset:1872
	global_load_dwordx4 v[148:151], v[194:195], off offset:1856
	v_add_f64 v[158:159], v[158:159], v[176:177]
	v_add_f64 v[158:159], v[158:159], v[168:169]
	v_add_f64 v[158:159], v[158:159], v[160:161]
	v_add_f64 v[158:159], v[158:159], v[162:163]
	v_add_f64 v[158:159], v[158:159], v[170:171]
	v_add_f64 v[158:159], v[158:159], v[178:179]
	s_waitcnt vmcnt(0) lgkmcnt(1)
	v_mul_f64 v[156:157], v[215:216], v[150:151]
	v_fma_f64 v[190:191], v[213:214], v[148:149], -v[156:157]
	v_mul_f64 v[156:157], v[213:214], v[150:151]
	v_fma_f64 v[192:193], v[215:216], v[148:149], v[156:157]
	s_waitcnt lgkmcnt(0)
	v_mul_f64 v[156:157], v[219:220], v[146:147]
	v_add_f64 v[158:159], v[158:159], v[192:193]
	v_fma_f64 v[194:195], v[217:218], v[144:145], -v[156:157]
	v_mul_f64 v[156:157], v[217:218], v[146:147]
	v_add_f64 v[215:216], v[199:200], v[194:195]
	v_fma_f64 v[213:214], v[219:220], v[144:145], v[156:157]
	v_add_f64 v[156:157], v[152:153], v[199:200]
	v_add_f64 v[158:159], v[158:159], v[213:214]
	;; [unrolled: 1-line block ×12, first 2 shown]
	v_add_f64 v[194:195], v[199:200], -v[194:195]
	v_add_f64 v[199:200], v[221:222], -v[213:214]
	v_mul_f64 v[221:222], v[194:195], s[26:27]
	v_mul_f64 v[213:214], v[199:200], s[26:27]
	v_mul_f64 v[225:226], v[199:200], s[36:37]
	v_mul_f64 v[233:234], v[199:200], s[4:5]
	v_mul_f64 v[241:242], v[199:200], s[20:21]
	v_mul_f64 v[199:200], v[199:200], s[22:23]
	v_mul_f64 v[229:230], v[194:195], s[36:37]
	v_mul_f64 v[237:238], v[194:195], s[4:5]
	v_mul_f64 v[245:246], v[194:195], s[20:21]
	v_mul_f64 v[194:195], v[194:195], s[22:23]
	v_fma_f64 v[223:224], v[217:218], s[16:17], v[221:222]
	v_fma_f64 v[219:220], v[215:216], s[16:17], -v[213:214]
	v_fma_f64 v[213:214], v[215:216], s[16:17], v[213:214]
	v_fma_f64 v[227:228], v[215:216], s[12:13], -v[225:226]
	;; [unrolled: 2-line block ×10, first 2 shown]
	v_add_f64 v[223:224], v[154:155], v[223:224]
	v_add_f64 v[219:220], v[152:153], v[219:220]
	;; [unrolled: 1-line block ×12, first 2 shown]
	v_add_f64 v[184:185], v[184:185], -v[192:193]
	v_add_f64 v[221:222], v[154:155], v[221:222]
	v_add_f64 v[231:232], v[154:155], v[231:232]
	;; [unrolled: 1-line block ×10, first 2 shown]
	v_add_f64 v[186:187], v[186:187], -v[190:191]
	v_mul_f64 v[190:191], v[184:185], s[36:37]
	v_mul_f64 v[215:216], v[186:187], s[36:37]
	v_fma_f64 v[192:193], v[194:195], s[12:13], -v[190:191]
	v_fma_f64 v[190:191], v[194:195], s[12:13], v[190:191]
	v_fma_f64 v[217:218], v[199:200], s[12:13], v[215:216]
	v_add_f64 v[192:193], v[192:193], v[219:220]
	v_add_f64 v[190:191], v[190:191], v[213:214]
	v_fma_f64 v[213:214], v[199:200], s[12:13], -v[215:216]
	v_mul_f64 v[215:216], v[184:185], s[20:21]
	v_add_f64 v[217:218], v[217:218], v[223:224]
	v_add_f64 v[213:214], v[213:214], v[221:222]
	v_fma_f64 v[219:220], v[194:195], s[18:19], -v[215:216]
	v_fma_f64 v[215:216], v[194:195], s[18:19], v[215:216]
	v_mul_f64 v[221:222], v[186:187], s[20:21]
	v_add_f64 v[219:220], v[219:220], v[227:228]
	v_add_f64 v[215:216], v[215:216], v[225:226]
	v_mul_f64 v[225:226], v[184:185], s[38:39]
	v_fma_f64 v[223:224], v[199:200], s[18:19], v[221:222]
	v_fma_f64 v[221:222], v[199:200], s[18:19], -v[221:222]
	v_fma_f64 v[227:228], v[194:195], s[24:25], -v[225:226]
	v_fma_f64 v[225:226], v[194:195], s[24:25], v[225:226]
	v_add_f64 v[221:222], v[221:222], v[229:230]
	v_mul_f64 v[229:230], v[186:187], s[38:39]
	v_add_f64 v[223:224], v[223:224], v[231:232]
	v_add_f64 v[227:228], v[227:228], v[235:236]
	;; [unrolled: 1-line block ×3, first 2 shown]
	v_mul_f64 v[233:234], v[184:185], s[34:35]
	v_fma_f64 v[231:232], v[199:200], s[24:25], v[229:230]
	v_fma_f64 v[229:230], v[199:200], s[24:25], -v[229:230]
	v_mul_f64 v[184:185], v[184:185], s[28:29]
	v_fma_f64 v[235:236], v[194:195], s[2:3], -v[233:234]
	v_fma_f64 v[233:234], v[194:195], s[2:3], v[233:234]
	v_add_f64 v[229:230], v[229:230], v[237:238]
	v_mul_f64 v[237:238], v[186:187], s[34:35]
	v_mul_f64 v[186:187], v[186:187], s[28:29]
	v_add_f64 v[231:232], v[231:232], v[239:240]
	v_add_f64 v[235:236], v[235:236], v[243:244]
	;; [unrolled: 1-line block ×3, first 2 shown]
	v_fma_f64 v[241:242], v[194:195], s[16:17], -v[184:185]
	v_fma_f64 v[184:185], v[194:195], s[16:17], v[184:185]
	v_fma_f64 v[243:244], v[199:200], s[16:17], v[186:187]
	v_fma_f64 v[239:240], v[199:200], s[2:3], v[237:238]
	v_fma_f64 v[237:238], v[199:200], s[2:3], -v[237:238]
	v_add_f64 v[241:242], v[241:242], v[249:250]
	v_add_f64 v[152:153], v[184:185], v[152:153]
	v_fma_f64 v[184:185], v[199:200], s[16:17], -v[186:187]
	v_add_f64 v[186:187], v[176:177], v[178:179]
	v_add_f64 v[176:177], v[176:177], -v[178:179]
	v_add_f64 v[239:240], v[239:240], v[247:248]
	v_add_f64 v[237:238], v[237:238], v[245:246]
	;; [unrolled: 1-line block ×5, first 2 shown]
	v_mul_f64 v[178:179], v[176:177], s[4:5]
	v_add_f64 v[180:181], v[180:181], -v[182:183]
	v_fma_f64 v[182:183], v[184:185], s[2:3], -v[178:179]
	v_fma_f64 v[178:179], v[184:185], s[2:3], v[178:179]
	v_add_f64 v[182:183], v[182:183], v[192:193]
	v_mul_f64 v[192:193], v[180:181], s[4:5]
	v_add_f64 v[178:179], v[178:179], v[190:191]
	v_fma_f64 v[190:191], v[186:187], s[2:3], -v[192:193]
	v_fma_f64 v[194:195], v[186:187], s[2:3], v[192:193]
	v_mul_f64 v[192:193], v[176:177], s[38:39]
	v_add_f64 v[190:191], v[190:191], v[213:214]
	v_mul_f64 v[213:214], v[180:181], s[38:39]
	v_add_f64 v[194:195], v[194:195], v[217:218]
	v_fma_f64 v[199:200], v[184:185], s[24:25], -v[192:193]
	v_fma_f64 v[192:193], v[184:185], s[24:25], v[192:193]
	v_fma_f64 v[217:218], v[186:187], s[24:25], v[213:214]
	v_fma_f64 v[213:214], v[186:187], s[24:25], -v[213:214]
	v_add_f64 v[199:200], v[199:200], v[219:220]
	v_add_f64 v[192:193], v[192:193], v[215:216]
	v_mul_f64 v[215:216], v[176:177], s[30:31]
	v_add_f64 v[217:218], v[217:218], v[223:224]
	v_add_f64 v[213:214], v[213:214], v[221:222]
	v_mul_f64 v[221:222], v[180:181], s[30:31]
	v_fma_f64 v[219:220], v[184:185], s[12:13], -v[215:216]
	v_fma_f64 v[215:216], v[184:185], s[12:13], v[215:216]
	v_fma_f64 v[223:224], v[186:187], s[12:13], v[221:222]
	v_fma_f64 v[221:222], v[186:187], s[12:13], -v[221:222]
	v_add_f64 v[219:220], v[219:220], v[227:228]
	v_add_f64 v[215:216], v[215:216], v[225:226]
	v_mul_f64 v[225:226], v[176:177], s[26:27]
	v_mul_f64 v[176:177], v[176:177], s[20:21]
	v_add_f64 v[223:224], v[223:224], v[231:232]
	v_add_f64 v[221:222], v[221:222], v[229:230]
	v_mul_f64 v[229:230], v[180:181], s[26:27]
	v_mul_f64 v[180:181], v[180:181], s[20:21]
	v_fma_f64 v[227:228], v[184:185], s[16:17], -v[225:226]
	v_fma_f64 v[225:226], v[184:185], s[16:17], v[225:226]
	v_fma_f64 v[231:232], v[186:187], s[16:17], v[229:230]
	v_fma_f64 v[229:230], v[186:187], s[16:17], -v[229:230]
	v_add_f64 v[227:228], v[227:228], v[235:236]
	v_add_f64 v[225:226], v[225:226], v[233:234]
	v_fma_f64 v[233:234], v[184:185], s[18:19], -v[176:177]
	v_fma_f64 v[235:236], v[186:187], s[18:19], v[180:181]
	v_fma_f64 v[176:177], v[184:185], s[18:19], v[176:177]
	v_add_f64 v[231:232], v[231:232], v[239:240]
	v_add_f64 v[239:240], v[168:169], v[170:171]
	v_add_f64 v[168:169], v[168:169], -v[170:171]
	v_add_f64 v[229:230], v[229:230], v[237:238]
	v_add_f64 v[237:238], v[172:173], v[174:175]
	v_add_f64 v[172:173], v[172:173], -v[174:175]
	v_add_f64 v[233:234], v[233:234], v[241:242]
	v_add_f64 v[235:236], v[235:236], v[243:244]
	;; [unrolled: 1-line block ×3, first 2 shown]
	v_fma_f64 v[176:177], v[186:187], s[18:19], -v[180:181]
	v_mul_f64 v[170:171], v[168:169], s[20:21]
	v_add_f64 v[154:155], v[176:177], v[154:155]
	v_fma_f64 v[174:175], v[237:238], s[18:19], -v[170:171]
	v_fma_f64 v[170:171], v[237:238], s[18:19], v[170:171]
	v_add_f64 v[241:242], v[174:175], v[182:183]
	v_mul_f64 v[174:175], v[172:173], s[20:21]
	v_add_f64 v[243:244], v[170:171], v[178:179]
	v_fma_f64 v[170:171], v[239:240], s[18:19], -v[174:175]
	v_fma_f64 v[176:177], v[239:240], s[18:19], v[174:175]
	v_add_f64 v[190:191], v[170:171], v[190:191]
	;; [unrolled: 5-line block ×6, first 2 shown]
	v_mul_f64 v[170:171], v[168:169], s[22:23]
	v_mul_f64 v[168:169], v[168:169], s[30:31]
	v_add_f64 v[223:224], v[176:177], v[223:224]
	v_fma_f64 v[174:175], v[237:238], s[24:25], -v[170:171]
	v_fma_f64 v[170:171], v[237:238], s[24:25], v[170:171]
	v_add_f64 v[184:185], v[174:175], v[227:228]
	v_mul_f64 v[174:175], v[172:173], s[22:23]
	v_add_f64 v[182:183], v[170:171], v[225:226]
	v_fma_f64 v[170:171], v[239:240], s[24:25], -v[174:175]
	v_fma_f64 v[176:177], v[239:240], s[24:25], v[174:175]
	v_add_f64 v[174:175], v[164:165], v[166:167]
	v_add_f64 v[164:165], v[164:165], -v[166:167]
	v_add_f64 v[166:167], v[160:161], -v[162:163]
	v_add_f64 v[180:181], v[170:171], v[229:230]
	v_fma_f64 v[170:171], v[237:238], s[12:13], -v[168:169]
	v_fma_f64 v[168:169], v[237:238], s[12:13], v[168:169]
	v_add_f64 v[186:187], v[176:177], v[231:232]
	v_add_f64 v[178:179], v[170:171], v[233:234]
	v_mul_f64 v[170:171], v[172:173], s[30:31]
	v_fma_f64 v[172:173], v[239:240], s[12:13], v[170:171]
	v_add_f64 v[176:177], v[172:173], v[235:236]
	v_add_f64 v[172:173], v[168:169], v[152:153]
	v_fma_f64 v[152:153], v[239:240], s[12:13], -v[170:171]
	v_add_f64 v[170:171], v[160:161], v[162:163]
	v_add_f64 v[168:169], v[152:153], v[154:155]
	v_mul_f64 v[152:153], v[166:167], s[22:23]
	v_fma_f64 v[154:155], v[174:175], s[24:25], -v[152:153]
	v_fma_f64 v[152:153], v[174:175], s[24:25], v[152:153]
	v_add_f64 v[160:161], v[154:155], v[241:242]
	v_mul_f64 v[154:155], v[164:165], s[22:23]
	v_add_f64 v[152:153], v[152:153], v[243:244]
	v_fma_f64 v[162:163], v[170:171], s[24:25], v[154:155]
	v_fma_f64 v[154:155], v[170:171], s[24:25], -v[154:155]
	v_add_f64 v[162:163], v[162:163], v[194:195]
	v_mul_f64 v[194:195], v[166:167], s[28:29]
	v_add_f64 v[154:155], v[154:155], v[190:191]
	v_fma_f64 v[190:191], v[174:175], s[16:17], -v[194:195]
	v_fma_f64 v[194:195], v[174:175], s[16:17], v[194:195]
	v_add_f64 v[190:191], v[190:191], v[199:200]
	v_mul_f64 v[199:200], v[164:165], s[28:29]
	v_add_f64 v[213:214], v[194:195], v[245:246]
	v_fma_f64 v[194:195], v[170:171], s[16:17], -v[199:200]
	v_fma_f64 v[192:193], v[170:171], s[16:17], v[199:200]
	;; [unrolled: 5-line block ×3, first 2 shown]
	v_add_f64 v[217:218], v[199:200], v[219:220]
	v_mul_f64 v[199:200], v[164:165], s[20:21]
	v_add_f64 v[221:222], v[194:195], v[249:250]
	v_fma_f64 v[219:220], v[170:171], s[18:19], v[199:200]
	v_fma_f64 v[194:195], v[170:171], s[18:19], -v[199:200]
	v_add_f64 v[219:220], v[219:220], v[223:224]
	v_add_f64 v[223:224], v[194:195], v[251:252]
	v_mul_f64 v[194:195], v[166:167], s[30:31]
	v_mul_f64 v[166:167], v[166:167], s[4:5]
	v_fma_f64 v[199:200], v[174:175], s[12:13], -v[194:195]
	v_fma_f64 v[194:195], v[174:175], s[12:13], v[194:195]
	v_add_f64 v[184:185], v[199:200], v[184:185]
	v_mul_f64 v[199:200], v[164:165], s[30:31]
	v_fma_f64 v[225:226], v[170:171], s[12:13], v[199:200]
	v_add_f64 v[186:187], v[225:226], v[186:187]
	v_add_f64 v[225:226], v[194:195], v[182:183]
	v_fma_f64 v[182:183], v[170:171], s[12:13], -v[199:200]
	v_add_f64 v[227:228], v[182:183], v[180:181]
	v_mul_f64 v[182:183], v[164:165], s[4:5]
	v_fma_f64 v[180:181], v[174:175], s[2:3], -v[166:167]
	v_fma_f64 v[164:165], v[170:171], s[2:3], v[182:183]
	v_add_f64 v[178:179], v[180:181], v[178:179]
	v_add_f64 v[180:181], v[164:165], v[176:177]
	v_fma_f64 v[164:165], v[174:175], s[2:3], v[166:167]
	v_fma_f64 v[166:167], v[170:171], s[2:3], -v[182:183]
	v_add_f64 v[164:165], v[164:165], v[172:173]
	v_add_f64 v[166:167], v[166:167], v[168:169]
	ds_write_b128 v201, v[156:159]
	ds_write_b128 v201, v[160:163] offset:1760
	ds_write_b128 v201, v[190:193] offset:3520
	;; [unrolled: 1-line block ×10, first 2 shown]
	v_add_co_u32 v160, s1, 0x4ba0, v188
	v_add_co_ci_u32_e64 v161, s1, 0, v189, s1
	v_add_co_u32 v199, s1, 0x4800, v188
	v_add_co_ci_u32_e64 v200, s1, 0, v189, s1
	s_waitcnt lgkmcnt(0)
	s_barrier
	buffer_gl0_inv
	global_load_dwordx4 v[162:165], v[199:200], off offset:928
	ds_read_b128 v[156:159], v201
	s_waitcnt vmcnt(0) lgkmcnt(0)
	v_mul_f64 v[166:167], v[158:159], v[164:165]
	v_fma_f64 v[166:167], v[156:157], v[162:163], -v[166:167]
	v_mul_f64 v[156:157], v[156:157], v[164:165]
	v_fma_f64 v[168:169], v[158:159], v[162:163], v[156:157]
	v_add_co_u32 v162, s1, 0x7000, v188
	v_add_co_ci_u32_e64 v163, s1, 0, v189, s1
	ds_read_b128 v[156:159], v201 offset:9680
	v_add_co_u32 v170, s1, 0x7800, v188
	global_load_dwordx4 v[162:165], v[162:163], off offset:368
	v_add_co_ci_u32_e64 v171, s1, 0, v189, s1
	ds_write_b128 v201, v[166:169]
	s_waitcnt vmcnt(0) lgkmcnt(1)
	v_mul_f64 v[166:167], v[158:159], v[164:165]
	v_fma_f64 v[166:167], v[156:157], v[162:163], -v[166:167]
	v_mul_f64 v[156:157], v[156:157], v[164:165]
	v_fma_f64 v[168:169], v[158:159], v[162:163], v[156:157]
	global_load_dwordx4 v[162:165], v[160:161], off offset:1760
	ds_read_b128 v[156:159], v201 offset:1760
	ds_write_b128 v201, v[166:169] offset:9680
	s_waitcnt vmcnt(0) lgkmcnt(1)
	v_mul_f64 v[166:167], v[158:159], v[164:165]
	v_fma_f64 v[166:167], v[156:157], v[162:163], -v[166:167]
	v_mul_f64 v[156:157], v[156:157], v[164:165]
	v_fma_f64 v[168:169], v[158:159], v[162:163], v[156:157]
	global_load_dwordx4 v[162:165], v[170:171], off offset:80
	ds_read_b128 v[156:159], v201 offset:11440
	ds_write_b128 v201, v[166:169] offset:1760
	s_waitcnt vmcnt(0) lgkmcnt(1)
	v_mul_f64 v[166:167], v[158:159], v[164:165]
	v_fma_f64 v[166:167], v[156:157], v[162:163], -v[166:167]
	v_mul_f64 v[156:157], v[156:157], v[164:165]
	v_fma_f64 v[168:169], v[158:159], v[162:163], v[156:157]
	v_add_co_u32 v162, s1, 0x5800, v188
	v_add_co_ci_u32_e64 v163, s1, 0, v189, s1
	ds_read_b128 v[156:159], v201 offset:3520
	global_load_dwordx4 v[162:165], v[162:163], off offset:352
	ds_write_b128 v201, v[166:169] offset:11440
	s_waitcnt vmcnt(0) lgkmcnt(1)
	v_mul_f64 v[166:167], v[158:159], v[164:165]
	v_fma_f64 v[166:167], v[156:157], v[162:163], -v[166:167]
	v_mul_f64 v[156:157], v[156:157], v[164:165]
	v_fma_f64 v[168:169], v[158:159], v[162:163], v[156:157]
	global_load_dwordx4 v[162:165], v[170:171], off offset:1840
	ds_read_b128 v[156:159], v201 offset:13200
	v_add_co_u32 v170, s1, 0x6000, v188
	v_add_co_ci_u32_e64 v171, s1, 0, v189, s1
	ds_write_b128 v201, v[166:169] offset:3520
	s_waitcnt vmcnt(0) lgkmcnt(1)
	v_mul_f64 v[166:167], v[158:159], v[164:165]
	v_fma_f64 v[166:167], v[156:157], v[162:163], -v[166:167]
	v_mul_f64 v[156:157], v[156:157], v[164:165]
	v_fma_f64 v[168:169], v[158:159], v[162:163], v[156:157]
	global_load_dwordx4 v[162:165], v[170:171], off offset:64
	ds_read_b128 v[156:159], v201 offset:5280
	ds_write_b128 v201, v[166:169] offset:13200
	s_waitcnt vmcnt(0) lgkmcnt(1)
	v_mul_f64 v[166:167], v[158:159], v[164:165]
	v_fma_f64 v[166:167], v[156:157], v[162:163], -v[166:167]
	v_mul_f64 v[156:157], v[156:157], v[164:165]
	v_fma_f64 v[168:169], v[158:159], v[162:163], v[156:157]
	v_add_co_u32 v162, s1, 0x8000, v188
	v_add_co_ci_u32_e64 v163, s1, 0, v189, s1
	ds_read_b128 v[156:159], v201 offset:14960
	global_load_dwordx4 v[162:165], v[162:163], off offset:1552
	ds_write_b128 v201, v[166:169] offset:5280
	s_waitcnt vmcnt(0) lgkmcnt(1)
	v_mul_f64 v[166:167], v[158:159], v[164:165]
	v_fma_f64 v[166:167], v[156:157], v[162:163], -v[166:167]
	v_mul_f64 v[156:157], v[156:157], v[164:165]
	v_fma_f64 v[168:169], v[158:159], v[162:163], v[156:157]
	global_load_dwordx4 v[162:165], v[170:171], off offset:1824
	ds_read_b128 v[156:159], v201 offset:7040
	ds_write_b128 v201, v[166:169] offset:14960
	s_waitcnt vmcnt(0) lgkmcnt(1)
	v_mul_f64 v[166:167], v[158:159], v[164:165]
	v_fma_f64 v[166:167], v[156:157], v[162:163], -v[166:167]
	v_mul_f64 v[156:157], v[156:157], v[164:165]
	v_fma_f64 v[168:169], v[158:159], v[162:163], v[156:157]
	v_add_co_u32 v162, s1, 0x8800, v188
	v_add_co_ci_u32_e64 v163, s1, 0, v189, s1
	ds_read_b128 v[156:159], v201 offset:16720
	global_load_dwordx4 v[162:165], v[162:163], off offset:1264
	ds_write_b128 v201, v[166:169] offset:7040
	s_waitcnt vmcnt(0) lgkmcnt(1)
	v_mul_f64 v[166:167], v[158:159], v[164:165]
	v_fma_f64 v[166:167], v[156:157], v[162:163], -v[166:167]
	v_mul_f64 v[156:157], v[156:157], v[164:165]
	v_fma_f64 v[168:169], v[158:159], v[162:163], v[156:157]
	ds_write_b128 v201, v[166:169] offset:16720
	s_and_saveexec_b32 s2, vcc_lo
	s_cbranch_execz .LBB0_13
; %bb.12:
	v_add_co_u32 v156, s1, 0x2000, v160
	v_add_co_ci_u32_e64 v157, s1, 0, v161, s1
	v_add_co_u32 v160, s1, 0x4800, v160
	v_add_co_ci_u32_e64 v161, s1, 0, v161, s1
	s_clause 0x1
	global_load_dwordx4 v[156:159], v[156:157], off offset:608
	global_load_dwordx4 v[160:163], v[160:161], off offset:48
	ds_read_b128 v[164:167], v201 offset:8800
	ds_read_b128 v[168:171], v201 offset:18480
	s_waitcnt vmcnt(1) lgkmcnt(1)
	v_mul_f64 v[172:173], v[166:167], v[158:159]
	v_mul_f64 v[158:159], v[164:165], v[158:159]
	s_waitcnt vmcnt(0) lgkmcnt(0)
	v_mul_f64 v[174:175], v[170:171], v[162:163]
	v_mul_f64 v[176:177], v[168:169], v[162:163]
	v_fma_f64 v[162:163], v[164:165], v[156:157], -v[172:173]
	v_fma_f64 v[164:165], v[166:167], v[156:157], v[158:159]
	v_fma_f64 v[156:157], v[168:169], v[160:161], -v[174:175]
	v_fma_f64 v[158:159], v[170:171], v[160:161], v[176:177]
	ds_write_b128 v201, v[162:165] offset:8800
	ds_write_b128 v201, v[156:159] offset:18480
.LBB0_13:
	s_or_b32 exec_lo, exec_lo, s2
	s_waitcnt lgkmcnt(0)
	s_barrier
	buffer_gl0_inv
	ds_read_b128 v[160:163], v201
	ds_read_b128 v[164:167], v201 offset:1760
	ds_read_b128 v[188:191], v201 offset:11440
	;; [unrolled: 1-line block ×9, first 2 shown]
	v_add_nc_u32_e32 v213, 0x2940, v211
	v_add_nc_u32_e32 v211, 0x3700, v211
	s_and_saveexec_b32 s1, vcc_lo
	s_cbranch_execz .LBB0_15
; %bb.14:
	ds_read_b128 v[152:155], v201 offset:8800
	ds_read_b128 v[108:111], v201 offset:18480
.LBB0_15:
	s_or_b32 exec_lo, exec_lo, s1
	s_waitcnt lgkmcnt(0)
	v_add_f64 v[214:215], v[176:177], -v[156:157]
	v_add_f64 v[216:217], v[178:179], -v[158:159]
	;; [unrolled: 1-line block ×12, first 2 shown]
	s_barrier
	buffer_gl0_inv
	v_fma_f64 v[176:177], v[176:177], 2.0, -v[214:215]
	v_fma_f64 v[178:179], v[178:179], 2.0, -v[216:217]
	v_fma_f64 v[108:109], v[152:153], 2.0, -v[156:157]
	v_fma_f64 v[110:111], v[154:155], 2.0, -v[158:159]
	v_fma_f64 v[160:161], v[160:161], 2.0, -v[192:193]
	v_fma_f64 v[162:163], v[162:163], 2.0, -v[194:195]
	v_fma_f64 v[164:165], v[164:165], 2.0, -v[188:189]
	v_fma_f64 v[166:167], v[166:167], 2.0, -v[190:191]
	v_fma_f64 v[172:173], v[172:173], 2.0, -v[184:185]
	v_fma_f64 v[174:175], v[174:175], 2.0, -v[186:187]
	v_fma_f64 v[168:169], v[168:169], 2.0, -v[180:181]
	v_fma_f64 v[170:171], v[170:171], 2.0, -v[182:183]
	ds_write_b128 v205, v[192:195] offset:16
	ds_write_b128 v206, v[188:191] offset:16
	;; [unrolled: 1-line block ×4, first 2 shown]
	ds_write_b128 v205, v[160:163]
	ds_write_b128 v206, v[164:167]
	;; [unrolled: 1-line block ×5, first 2 shown]
	ds_write_b128 v211, v[214:217] offset:16
	s_and_saveexec_b32 s1, vcc_lo
	s_cbranch_execz .LBB0_17
; %bb.16:
	ds_write_b128 v208, v[108:111]
	ds_write_b128 v208, v[156:159] offset:16
.LBB0_17:
	s_or_b32 exec_lo, exec_lo, s1
	s_waitcnt lgkmcnt(0)
	s_barrier
	buffer_gl0_inv
	ds_read_b128 v[160:163], v201
	ds_read_b128 v[152:155], v201 offset:1760
	ds_read_b128 v[192:195], v201 offset:3872
	;; [unrolled: 1-line block ×9, first 2 shown]
	s_and_saveexec_b32 s1, s0
	s_cbranch_execz .LBB0_19
; %bb.18:
	ds_read_b128 v[108:111], v201 offset:3520
	ds_read_b128 v[156:159], v201 offset:7392
	ds_read_b128 v[92:95], v201 offset:11264
	ds_read_b128 v[96:99], v201 offset:15136
	ds_read_b128 v[100:103], v201 offset:19008
.LBB0_19:
	s_or_b32 exec_lo, exec_lo, s1
	s_waitcnt lgkmcnt(7)
	v_mul_f64 v[205:206], v[42:43], v[194:195]
	s_mov_b32 s14, 0x134454ff
	s_mov_b32 s15, 0xbfee6f0e
	s_mov_b32 s17, 0x3fee6f0e
	s_mov_b32 s16, s14
	s_mov_b32 s2, 0x4755a5e
	s_mov_b32 s3, 0xbfe2cf23
	s_mov_b32 s5, 0x3fe2cf23
	s_mov_b32 s4, s2
	s_mov_b32 s12, 0x372fe950
	s_mov_b32 s13, 0x3fd3c6ef
	s_waitcnt lgkmcnt(0)
	s_barrier
	buffer_gl0_inv
	v_fma_f64 v[205:206], v[40:41], v[192:193], v[205:206]
	v_mul_f64 v[192:193], v[42:43], v[192:193]
	v_fma_f64 v[192:193], v[40:41], v[194:195], -v[192:193]
	v_mul_f64 v[194:195], v[54:55], v[190:191]
	v_fma_f64 v[194:195], v[52:53], v[188:189], v[194:195]
	v_mul_f64 v[188:189], v[54:55], v[188:189]
	v_fma_f64 v[188:189], v[52:53], v[190:191], -v[188:189]
	v_mul_f64 v[190:191], v[50:51], v[186:187]
	v_fma_f64 v[190:191], v[48:49], v[184:185], v[190:191]
	v_mul_f64 v[184:185], v[50:51], v[184:185]
	v_add_f64 v[227:228], v[194:195], -v[190:191]
	v_fma_f64 v[184:185], v[48:49], v[186:187], -v[184:185]
	v_mul_f64 v[186:187], v[46:47], v[182:183]
	v_fma_f64 v[186:187], v[44:45], v[180:181], v[186:187]
	v_mul_f64 v[180:181], v[46:47], v[180:181]
	v_fma_f64 v[180:181], v[44:45], v[182:183], -v[180:181]
	v_mul_f64 v[182:183], v[42:43], v[178:179]
	v_fma_f64 v[207:208], v[40:41], v[176:177], v[182:183]
	v_mul_f64 v[176:177], v[42:43], v[176:177]
	v_add_f64 v[182:183], v[205:206], -v[186:187]
	v_fma_f64 v[213:214], v[40:41], v[178:179], -v[176:177]
	v_mul_f64 v[176:177], v[54:55], v[174:175]
	v_add_f64 v[178:179], v[188:189], -v[184:185]
	v_fma_f64 v[215:216], v[52:53], v[172:173], v[176:177]
	v_mul_f64 v[172:173], v[54:55], v[172:173]
	v_add_f64 v[176:177], v[192:193], -v[180:181]
	v_fma_f64 v[217:218], v[52:53], v[174:175], -v[172:173]
	v_mul_f64 v[172:173], v[50:51], v[170:171]
	v_fma_f64 v[219:220], v[48:49], v[168:169], v[172:173]
	v_mul_f64 v[168:169], v[50:51], v[168:169]
	v_fma_f64 v[221:222], v[48:49], v[170:171], -v[168:169]
	v_mul_f64 v[168:169], v[46:47], v[166:167]
	v_fma_f64 v[223:224], v[44:45], v[164:165], v[168:169]
	v_mul_f64 v[164:165], v[46:47], v[164:165]
	v_fma_f64 v[225:226], v[44:45], v[166:167], -v[164:165]
	v_add_f64 v[164:165], v[205:206], -v[194:195]
	v_add_f64 v[166:167], v[186:187], -v[190:191]
	v_add_f64 v[168:169], v[164:165], v[166:167]
	v_add_f64 v[164:165], v[192:193], -v[188:189]
	v_add_f64 v[166:167], v[180:181], -v[184:185]
	v_add_f64 v[170:171], v[164:165], v[166:167]
	v_add_f64 v[164:165], v[194:195], v[190:191]
	v_fma_f64 v[172:173], v[164:165], -0.5, v[160:161]
	v_add_f64 v[164:165], v[188:189], v[184:185]
	v_fma_f64 v[174:175], v[164:165], -0.5, v[162:163]
	v_fma_f64 v[164:165], v[176:177], s[14:15], v[172:173]
	v_fma_f64 v[172:173], v[176:177], s[16:17], v[172:173]
	;; [unrolled: 1-line block ×10, first 2 shown]
	v_add_f64 v[172:173], v[205:206], v[186:187]
	v_fma_f64 v[166:167], v[170:171], s[12:13], v[166:167]
	v_fma_f64 v[170:171], v[170:171], s[12:13], v[174:175]
	v_add_f64 v[174:175], v[192:193], v[180:181]
	v_fma_f64 v[172:173], v[172:173], -0.5, v[160:161]
	v_add_f64 v[160:161], v[160:161], v[205:206]
	v_add_f64 v[205:206], v[194:195], -v[205:206]
	v_fma_f64 v[174:175], v[174:175], -0.5, v[162:163]
	v_add_f64 v[162:163], v[162:163], v[192:193]
	v_add_f64 v[160:161], v[160:161], v[194:195]
	v_add_f64 v[194:195], v[213:214], -v[225:226]
	v_add_f64 v[162:163], v[162:163], v[188:189]
	v_add_f64 v[188:189], v[188:189], -v[192:193]
	;; [unrolled: 2-line block ×3, first 2 shown]
	v_add_f64 v[192:193], v[217:218], -v[221:222]
	v_add_f64 v[162:163], v[162:163], v[184:185]
	v_add_f64 v[160:161], v[160:161], v[186:187]
	;; [unrolled: 1-line block ×3, first 2 shown]
	v_add_f64 v[205:206], v[215:216], -v[219:220]
	v_add_f64 v[162:163], v[162:163], v[180:181]
	v_add_f64 v[180:181], v[184:185], -v[180:181]
	v_fma_f64 v[184:185], v[178:179], s[16:17], v[172:173]
	v_fma_f64 v[172:173], v[178:179], s[14:15], v[172:173]
	;; [unrolled: 1-line block ×4, first 2 shown]
	v_add_f64 v[227:228], v[207:208], -v[223:224]
	v_add_f64 v[180:181], v[188:189], v[180:181]
	v_fma_f64 v[184:185], v[176:177], s[2:3], v[184:185]
	v_fma_f64 v[176:177], v[176:177], s[4:5], v[172:173]
	;; [unrolled: 1-line block ×8, first 2 shown]
	v_add_f64 v[180:181], v[215:216], -v[207:208]
	v_add_f64 v[182:183], v[219:220], -v[223:224]
	v_add_f64 v[184:185], v[180:181], v[182:183]
	v_add_f64 v[180:181], v[217:218], -v[213:214]
	v_add_f64 v[182:183], v[221:222], -v[225:226]
	v_add_f64 v[186:187], v[180:181], v[182:183]
	v_add_f64 v[180:181], v[207:208], v[223:224]
	v_fma_f64 v[188:189], v[180:181], -0.5, v[152:153]
	v_add_f64 v[180:181], v[213:214], v[225:226]
	v_fma_f64 v[190:191], v[180:181], -0.5, v[154:155]
	v_fma_f64 v[180:181], v[192:193], s[16:17], v[188:189]
	v_fma_f64 v[188:189], v[192:193], s[14:15], v[188:189]
	;; [unrolled: 1-line block ×10, first 2 shown]
	v_add_f64 v[188:189], v[215:216], v[219:220]
	v_fma_f64 v[182:183], v[186:187], s[12:13], v[182:183]
	v_fma_f64 v[186:187], v[186:187], s[12:13], v[190:191]
	v_add_f64 v[190:191], v[217:218], v[221:222]
	v_fma_f64 v[188:189], v[188:189], -0.5, v[152:153]
	v_add_f64 v[152:153], v[152:153], v[207:208]
	v_add_f64 v[207:208], v[207:208], -v[215:216]
	v_fma_f64 v[190:191], v[190:191], -0.5, v[154:155]
	v_add_f64 v[154:155], v[154:155], v[213:214]
	v_add_f64 v[213:214], v[213:214], -v[217:218]
	v_add_f64 v[152:153], v[152:153], v[215:216]
	v_fma_f64 v[215:216], v[194:195], s[14:15], v[188:189]
	v_fma_f64 v[188:189], v[194:195], s[16:17], v[188:189]
	v_add_f64 v[194:195], v[223:224], -v[219:220]
	v_add_f64 v[154:155], v[154:155], v[217:218]
	v_add_f64 v[217:218], v[225:226], -v[221:222]
	v_add_f64 v[152:153], v[152:153], v[219:220]
	v_fma_f64 v[219:220], v[227:228], s[16:17], v[190:191]
	v_fma_f64 v[190:191], v[227:228], s[14:15], v[190:191]
	v_add_f64 v[194:195], v[207:208], v[194:195]
	v_fma_f64 v[207:208], v[192:193], s[2:3], v[215:216]
	v_fma_f64 v[192:193], v[192:193], s[4:5], v[188:189]
	v_add_f64 v[154:155], v[154:155], v[221:222]
	v_add_f64 v[213:214], v[213:214], v[217:218]
	;; [unrolled: 1-line block ×3, first 2 shown]
	v_fma_f64 v[215:216], v[205:206], s[4:5], v[219:220]
	v_fma_f64 v[205:206], v[205:206], s[2:3], v[190:191]
	v_fma_f64 v[188:189], v[194:195], s[12:13], v[207:208]
	v_fma_f64 v[192:193], v[194:195], s[12:13], v[192:193]
	v_add_f64 v[154:155], v[154:155], v[225:226]
	v_fma_f64 v[190:191], v[213:214], s[12:13], v[215:216]
	v_fma_f64 v[194:195], v[213:214], s[12:13], v[205:206]
	ds_write_b128 v210, v[160:163]
	ds_write_b128 v210, v[164:167] offset:32
	ds_write_b128 v210, v[172:175] offset:64
	;; [unrolled: 1-line block ×4, first 2 shown]
	ds_write_b128 v209, v[152:155]
	ds_write_b128 v209, v[188:191] offset:32
	ds_write_b128 v209, v[180:183] offset:64
	;; [unrolled: 1-line block ×4, first 2 shown]
	s_and_saveexec_b32 s1, s0
	s_cbranch_execz .LBB0_21
; %bb.20:
	v_mul_f64 v[152:153], v[54:55], v[92:93]
	v_mul_f64 v[154:155], v[42:43], v[156:157]
	;; [unrolled: 1-line block ×8, first 2 shown]
	v_fma_f64 v[94:95], v[52:53], v[94:95], -v[152:153]
	v_fma_f64 v[152:153], v[40:41], v[158:159], -v[154:155]
	;; [unrolled: 1-line block ×4, first 2 shown]
	v_fma_f64 v[52:53], v[52:53], v[92:93], v[54:55]
	v_fma_f64 v[48:49], v[48:49], v[96:97], v[50:51]
	;; [unrolled: 1-line block ×4, first 2 shown]
	v_add_f64 v[100:101], v[110:111], v[152:153]
	v_add_f64 v[42:43], v[152:153], v[102:103]
	;; [unrolled: 1-line block ×3, first 2 shown]
	v_add_f64 v[156:157], v[152:153], -v[102:103]
	v_add_f64 v[50:51], v[52:53], v[48:49]
	v_add_f64 v[154:155], v[108:109], v[40:41]
	;; [unrolled: 1-line block ×3, first 2 shown]
	v_add_f64 v[92:93], v[52:53], -v[48:49]
	v_add_f64 v[96:97], v[40:41], -v[44:45]
	v_add_f64 v[160:161], v[102:103], -v[98:99]
	v_add_f64 v[162:163], v[52:53], -v[40:41]
	v_add_f64 v[40:41], v[40:41], -v[52:53]
	v_add_f64 v[166:167], v[44:45], -v[48:49]
	v_add_f64 v[158:159], v[98:99], -v[102:103]
	v_add_f64 v[164:165], v[48:49], -v[44:45]
	v_fma_f64 v[42:43], v[42:43], -0.5, v[110:111]
	v_fma_f64 v[46:47], v[46:47], -0.5, v[110:111]
	v_add_f64 v[110:111], v[94:95], -v[98:99]
	v_fma_f64 v[50:51], v[50:51], -0.5, v[108:109]
	v_add_f64 v[52:53], v[154:155], v[52:53]
	v_fma_f64 v[54:55], v[54:55], -0.5, v[108:109]
	v_add_f64 v[108:109], v[94:95], -v[152:153]
	v_add_f64 v[152:153], v[152:153], -v[94:95]
	v_add_f64 v[94:95], v[100:101], v[94:95]
	v_fma_f64 v[100:101], v[92:93], s[16:17], v[42:43]
	v_fma_f64 v[42:43], v[92:93], s[14:15], v[42:43]
	;; [unrolled: 1-line block ×8, first 2 shown]
	v_add_f64 v[152:153], v[152:153], v[160:161]
	v_add_f64 v[160:161], v[40:41], v[166:167]
	;; [unrolled: 1-line block ×6, first 2 shown]
	v_fma_f64 v[52:53], v[96:97], s[2:3], v[100:101]
	v_fma_f64 v[94:95], v[96:97], s[4:5], v[42:43]
	;; [unrolled: 1-line block ×8, first 2 shown]
	v_add_f64 v[42:43], v[40:41], v[102:103]
	v_add_f64 v[40:41], v[48:49], v[44:45]
	v_fma_f64 v[46:47], v[108:109], s[12:13], v[52:53]
	v_fma_f64 v[50:51], v[108:109], s[12:13], v[94:95]
	;; [unrolled: 1-line block ×8, first 2 shown]
	v_mul_u32_u24_e32 v96, 10, v204
	v_or_b32_e32 v96, v96, v203
	v_lshlrev_b32_e32 v96, 4, v96
	ds_write_b128 v96, v[40:43]
	ds_write_b128 v96, v[92:95] offset:32
	ds_write_b128 v96, v[48:51] offset:64
	;; [unrolled: 1-line block ×4, first 2 shown]
.LBB0_21:
	s_or_b32 exec_lo, exec_lo, s1
	s_waitcnt lgkmcnt(0)
	s_barrier
	buffer_gl0_inv
	ds_read_b128 v[44:47], v201 offset:1760
	ds_read_b128 v[40:43], v201
	ds_read_b128 v[48:51], v201 offset:3520
	ds_read_b128 v[52:55], v201 offset:5280
	;; [unrolled: 1-line block ×9, first 2 shown]
	s_mov_b32 s2, 0xf8bb580b
	s_mov_b32 s4, 0x8764f0ba
	;; [unrolled: 1-line block ×9, first 2 shown]
	s_waitcnt lgkmcnt(10)
	v_mul_f64 v[164:165], v[82:83], v[46:47]
	v_mul_f64 v[82:83], v[82:83], v[44:45]
	s_waitcnt lgkmcnt(8)
	v_mul_f64 v[168:169], v[66:67], v[50:51]
	v_mul_f64 v[66:67], v[66:67], v[48:49]
	;; [unrolled: 3-line block ×3, first 2 shown]
	s_mov_b32 s16, 0xd9c712b6
	s_waitcnt lgkmcnt(3)
	v_mul_f64 v[174:175], v[74:75], v[110:111]
	s_waitcnt lgkmcnt(2)
	v_mul_f64 v[170:171], v[78:79], v[154:155]
	v_mul_f64 v[78:79], v[78:79], v[152:153]
	s_waitcnt lgkmcnt(0)
	v_mul_f64 v[166:167], v[90:91], v[160:161]
	v_mul_f64 v[74:75], v[74:75], v[108:109]
	s_mov_b32 s22, 0xbb3a28a1
	s_mov_b32 s26, 0x7f775887
	;; [unrolled: 1-line block ×10, first 2 shown]
	v_fma_f64 v[164:165], v[80:81], v[44:45], v[164:165]
	v_fma_f64 v[80:81], v[80:81], v[46:47], -v[82:83]
	v_mul_f64 v[46:47], v[90:91], v[162:163]
	v_mul_f64 v[82:83], v[106:107], v[158:159]
	;; [unrolled: 1-line block ×5, first 2 shown]
	v_fma_f64 v[48:49], v[64:65], v[48:49], v[168:169]
	v_fma_f64 v[50:51], v[64:65], v[50:51], -v[66:67]
	s_mov_b32 s35, 0xbfeeb42a
	v_fma_f64 v[44:45], v[88:89], v[162:163], -v[166:167]
	v_mul_f64 v[162:163], v[86:87], v[98:99]
	v_mul_f64 v[86:87], v[86:87], v[96:97]
	;; [unrolled: 1-line block ×4, first 2 shown]
	s_mov_b32 s0, s2
	s_mov_b32 s25, 0x3fefac9e
	;; [unrolled: 1-line block ×7, first 2 shown]
	v_add_f64 v[64:65], v[40:41], v[164:165]
	v_add_f64 v[66:67], v[42:43], v[80:81]
	v_fma_f64 v[46:47], v[88:89], v[160:161], v[46:47]
	v_fma_f64 v[82:83], v[104:105], v[156:157], v[82:83]
	v_fma_f64 v[88:89], v[104:105], v[158:159], -v[90:91]
	v_fma_f64 v[52:53], v[60:61], v[52:53], v[106:107]
	v_fma_f64 v[54:55], v[60:61], v[54:55], -v[62:63]
	;; [unrolled: 2-line block ×5, first 2 shown]
	v_add_f64 v[74:75], v[80:81], -v[44:45]
	v_add_f64 v[78:79], v[80:81], v[44:45]
	v_fma_f64 v[80:81], v[84:85], v[96:97], v[162:163]
	v_fma_f64 v[84:85], v[84:85], v[98:99], -v[86:87]
	v_fma_f64 v[86:87], v[68:69], v[100:101], v[166:167]
	v_fma_f64 v[68:69], v[68:69], v[102:103], -v[70:71]
	s_mov_b32 s14, s12
	s_mov_b32 s30, s22
	v_add_f64 v[64:65], v[64:65], v[48:49]
	v_add_f64 v[66:67], v[66:67], v[50:51]
	;; [unrolled: 1-line block ×3, first 2 shown]
	v_add_f64 v[90:91], v[164:165], -v[46:47]
	v_add_f64 v[94:95], v[50:51], -v[88:89]
	v_add_f64 v[50:51], v[50:51], v[88:89]
	v_add_f64 v[92:93], v[48:49], v[82:83]
	v_add_f64 v[96:97], v[52:53], v[60:61]
	v_add_f64 v[98:99], v[54:55], v[62:63]
	v_add_f64 v[100:101], v[52:53], -v[60:61]
	v_add_f64 v[102:103], v[54:55], -v[62:63]
	;; [unrolled: 1-line block ×3, first 2 shown]
	v_add_f64 v[106:107], v[56:57], v[72:73]
	v_mul_f64 v[110:111], v[74:75], s[2:3]
	v_mul_f64 v[152:153], v[78:79], s[4:5]
	;; [unrolled: 1-line block ×6, first 2 shown]
	v_add_f64 v[108:109], v[56:57], -v[72:73]
	v_add_f64 v[104:105], v[76:77], v[58:59]
	s_barrier
	v_add_f64 v[52:53], v[64:65], v[52:53]
	v_add_f64 v[54:55], v[66:67], v[54:55]
	v_mul_f64 v[64:65], v[74:75], s[18:19]
	v_mul_f64 v[66:67], v[78:79], s[20:21]
	;; [unrolled: 1-line block ×11, first 2 shown]
	v_fma_f64 v[192:193], v[70:71], s[4:5], v[110:111]
	v_fma_f64 v[194:195], v[90:91], s[0:1], v[152:153]
	v_mul_f64 v[176:177], v[50:51], s[20:21]
	v_mul_f64 v[94:95], v[94:95], s[0:1]
	;; [unrolled: 1-line block ×5, first 2 shown]
	v_fma_f64 v[110:111], v[70:71], s[4:5], -v[110:111]
	v_fma_f64 v[152:153], v[90:91], s[2:3], v[152:153]
	v_add_f64 v[52:53], v[52:53], v[76:77]
	v_add_f64 v[54:55], v[54:55], v[56:57]
	v_fma_f64 v[207:208], v[70:71], s[20:21], v[64:65]
	v_fma_f64 v[209:210], v[90:91], s[24:25], v[66:67]
	v_fma_f64 v[64:65], v[70:71], s[20:21], -v[64:65]
	v_fma_f64 v[66:67], v[90:91], s[18:19], v[66:67]
	v_fma_f64 v[203:204], v[70:71], s[16:17], v[154:155]
	v_fma_f64 v[205:206], v[90:91], s[14:15], v[156:157]
	v_fma_f64 v[154:155], v[70:71], s[16:17], -v[154:155]
	v_fma_f64 v[156:157], v[90:91], s[12:13], v[156:157]
	;; [unrolled: 4-line block ×4, first 2 shown]
	v_fma_f64 v[78:79], v[92:93], s[16:17], v[162:163]
	v_fma_f64 v[90:91], v[48:49], s[14:15], v[164:165]
	v_add_f64 v[192:193], v[40:41], v[192:193]
	v_add_f64 v[194:195], v[42:43], v[194:195]
	v_add_f64 v[52:53], v[52:53], v[80:81]
	v_add_f64 v[54:55], v[54:55], v[84:85]
	v_mul_f64 v[56:57], v[102:103], s[14:15]
	v_mul_f64 v[186:187], v[98:99], s[16:17]
	v_fma_f64 v[225:226], v[92:93], s[34:35], v[170:171]
	v_fma_f64 v[227:228], v[48:49], s[28:29], v[172:173]
	v_fma_f64 v[170:171], v[92:93], s[34:35], -v[170:171]
	v_fma_f64 v[172:173], v[48:49], s[36:37], v[172:173]
	v_add_f64 v[64:65], v[40:41], v[64:65]
	v_add_f64 v[66:67], v[42:43], v[66:67]
	v_mul_f64 v[188:189], v[102:103], s[2:3]
	v_fma_f64 v[162:163], v[92:93], s[16:17], -v[162:163]
	v_fma_f64 v[164:165], v[48:49], s[12:13], v[164:165]
	v_fma_f64 v[221:222], v[92:93], s[26:27], v[166:167]
	;; [unrolled: 1-line block ×3, first 2 shown]
	v_fma_f64 v[166:167], v[92:93], s[26:27], -v[166:167]
	v_fma_f64 v[168:169], v[48:49], s[22:23], v[168:169]
	v_fma_f64 v[229:230], v[92:93], s[20:21], v[174:175]
	;; [unrolled: 1-line block ×3, first 2 shown]
	v_fma_f64 v[174:175], v[92:93], s[20:21], -v[174:175]
	v_fma_f64 v[176:177], v[48:49], s[24:25], v[176:177]
	v_fma_f64 v[233:234], v[92:93], s[4:5], v[94:95]
	v_add_f64 v[52:53], v[52:53], v[86:87]
	v_add_f64 v[54:55], v[54:55], v[68:69]
	v_fma_f64 v[235:236], v[48:49], s[2:3], v[50:51]
	v_fma_f64 v[92:93], v[92:93], s[4:5], -v[94:95]
	v_fma_f64 v[48:49], v[48:49], s[0:1], v[50:51]
	v_fma_f64 v[50:51], v[96:97], s[20:21], v[178:179]
	;; [unrolled: 1-line block ×3, first 2 shown]
	v_add_f64 v[154:155], v[40:41], v[154:155]
	v_add_f64 v[156:157], v[42:43], v[156:157]
	;; [unrolled: 1-line block ×4, first 2 shown]
	v_mul_f64 v[182:183], v[102:103], s[36:37]
	v_mul_f64 v[184:185], v[98:99], s[34:35]
	;; [unrolled: 1-line block ×4, first 2 shown]
	v_fma_f64 v[241:242], v[96:97], s[16:17], v[56:57]
	v_fma_f64 v[243:244], v[100:101], s[12:13], v[186:187]
	v_fma_f64 v[56:57], v[96:97], s[16:17], -v[56:57]
	v_fma_f64 v[186:187], v[100:101], s[14:15], v[186:187]
	v_add_f64 v[64:65], v[170:171], v[64:65]
	v_add_f64 v[66:67], v[172:173], v[66:67]
	v_mul_f64 v[98:99], v[98:99], s[26:27]
	v_add_f64 v[52:53], v[52:53], v[58:59]
	v_add_f64 v[54:55], v[54:55], v[72:73]
	;; [unrolled: 1-line block ×16, first 2 shown]
	v_fma_f64 v[180:181], v[100:101], s[18:19], v[180:181]
	v_add_f64 v[58:59], v[76:77], -v[58:59]
	v_fma_f64 v[76:77], v[96:97], s[4:5], v[188:189]
	v_fma_f64 v[178:179], v[96:97], s[20:21], -v[178:179]
	v_fma_f64 v[237:238], v[96:97], s[34:35], v[182:183]
	v_fma_f64 v[239:240], v[100:101], s[28:29], v[184:185]
	v_add_f64 v[52:53], v[52:53], v[60:61]
	v_add_f64 v[54:55], v[54:55], v[62:63]
	v_fma_f64 v[182:183], v[96:97], s[34:35], -v[182:183]
	v_add_f64 v[62:63], v[164:165], v[110:111]
	v_add_f64 v[110:111], v[168:169], v[156:157]
	v_add_f64 v[60:61], v[162:163], v[72:73]
	v_add_f64 v[72:73], v[221:222], v[152:153]
	v_add_f64 v[78:79], v[223:224], v[203:204]
	v_add_f64 v[156:157], v[229:230], v[209:210]
	v_add_f64 v[90:91], v[166:167], v[154:155]
	v_add_f64 v[162:163], v[231:232], v[213:214]
	v_fma_f64 v[184:185], v[100:101], s[36:37], v[184:185]
	v_add_f64 v[40:41], v[92:93], v[40:41]
	v_add_f64 v[42:43], v[48:49], v[42:43]
	;; [unrolled: 1-line block ×4, first 2 shown]
	v_mul_f64 v[74:75], v[106:107], s[26:27]
	v_mul_f64 v[70:71], v[108:109], s[22:23]
	;; [unrolled: 1-line block ×3, first 2 shown]
	v_add_f64 v[158:159], v[174:175], v[158:159]
	v_add_f64 v[160:161], v[176:177], v[160:161]
	v_fma_f64 v[94:95], v[96:97], s[4:5], -v[188:189]
	v_add_f64 v[52:53], v[52:53], v[82:83]
	v_add_f64 v[54:55], v[54:55], v[88:89]
	v_fma_f64 v[82:83], v[100:101], s[0:1], v[190:191]
	v_mul_f64 v[88:89], v[108:109], s[24:25]
	v_fma_f64 v[168:169], v[100:101], s[2:3], v[190:191]
	v_add_f64 v[56:57], v[56:57], v[64:65]
	v_add_f64 v[64:65], v[186:187], v[66:67]
	v_fma_f64 v[66:67], v[96:97], s[26:27], -v[102:103]
	v_add_f64 v[152:153], v[225:226], v[205:206]
	v_fma_f64 v[170:171], v[96:97], s[26:27], v[102:103]
	v_mul_f64 v[102:103], v[108:109], s[2:3]
	v_add_f64 v[154:155], v[227:228], v[207:208]
	v_add_f64 v[62:63], v[180:181], v[62:63]
	v_fma_f64 v[172:173], v[100:101], s[30:31], v[98:99]
	v_fma_f64 v[96:97], v[100:101], s[22:23], v[98:99]
	v_add_f64 v[76:77], v[76:77], v[156:157]
	v_fma_f64 v[100:101], v[58:59], s[30:31], v[74:75]
	v_fma_f64 v[74:75], v[58:59], s[22:23], v[74:75]
	v_mul_f64 v[156:157], v[106:107], s[4:5]
	v_add_f64 v[60:61], v[178:179], v[60:61]
	v_add_f64 v[72:73], v[237:238], v[72:73]
	;; [unrolled: 1-line block ×4, first 2 shown]
	v_fma_f64 v[98:99], v[104:105], s[26:27], v[70:71]
	v_add_f64 v[82:83], v[82:83], v[162:163]
	v_fma_f64 v[70:71], v[104:105], s[26:27], -v[70:71]
	v_fma_f64 v[162:163], v[104:105], s[20:21], v[88:89]
	v_fma_f64 v[174:175], v[58:59], s[18:19], v[92:93]
	v_fma_f64 v[88:89], v[104:105], s[20:21], -v[88:89]
	v_add_f64 v[110:111], v[184:185], v[110:111]
	v_add_f64 v[94:95], v[94:95], v[158:159]
	v_fma_f64 v[92:93], v[58:59], s[24:25], v[92:93]
	v_add_f64 v[158:159], v[168:169], v[160:161]
	v_mul_f64 v[160:161], v[108:109], s[28:29]
	v_mul_f64 v[168:169], v[106:107], s[34:35]
	;; [unrolled: 1-line block ×4, first 2 shown]
	v_add_f64 v[40:41], v[66:67], v[40:41]
	v_add_f64 v[66:67], v[84:85], -v[68:69]
	v_add_f64 v[68:69], v[84:85], v[68:69]
	v_add_f64 v[164:165], v[233:234], v[215:216]
	;; [unrolled: 1-line block ×4, first 2 shown]
	v_fma_f64 v[84:85], v[104:105], s[4:5], v[102:103]
	v_add_f64 v[154:155], v[243:244], v[154:155]
	v_add_f64 v[42:43], v[96:97], v[42:43]
	;; [unrolled: 1-line block ×3, first 2 shown]
	v_fma_f64 v[62:63], v[58:59], s[0:1], v[156:157]
	v_fma_f64 v[74:75], v[104:105], s[4:5], -v[102:103]
	v_add_f64 v[60:61], v[70:71], v[60:61]
	v_add_f64 v[70:71], v[162:163], v[72:73]
	;; [unrolled: 1-line block ×4, first 2 shown]
	v_fma_f64 v[90:91], v[58:59], s[2:3], v[156:157]
	v_add_f64 v[48:49], v[98:99], v[48:49]
	v_add_f64 v[50:51], v[100:101], v[50:51]
	;; [unrolled: 1-line block ×3, first 2 shown]
	v_fma_f64 v[92:93], v[104:105], s[34:35], v[160:161]
	v_fma_f64 v[98:99], v[58:59], s[36:37], v[168:169]
	v_fma_f64 v[100:101], v[104:105], s[34:35], -v[160:161]
	v_fma_f64 v[102:103], v[58:59], s[28:29], v[168:169]
	v_fma_f64 v[110:111], v[104:105], s[16:17], v[108:109]
	;; [unrolled: 1-line block ×3, first 2 shown]
	v_fma_f64 v[104:105], v[104:105], s[16:17], -v[108:109]
	v_fma_f64 v[58:59], v[58:59], s[14:15], v[106:107]
	v_add_f64 v[106:107], v[80:81], v[86:87]
	v_add_f64 v[80:81], v[80:81], -v[86:87]
	v_mul_f64 v[86:87], v[66:67], s[28:29]
	v_mul_f64 v[108:109], v[68:69], s[34:35]
	v_add_f64 v[164:165], v[170:171], v[164:165]
	v_add_f64 v[166:167], v[172:173], v[166:167]
	;; [unrolled: 1-line block ×3, first 2 shown]
	v_mul_f64 v[152:153], v[66:67], s[0:1]
	v_mul_f64 v[160:161], v[68:69], s[4:5]
	v_add_f64 v[62:63], v[62:63], v[154:155]
	v_mul_f64 v[154:155], v[66:67], s[22:23]
	v_mul_f64 v[162:163], v[68:69], s[26:27]
	v_add_f64 v[74:75], v[74:75], v[56:57]
	;; [unrolled: 3-line block ×4, first 2 shown]
	v_add_f64 v[76:77], v[98:99], v[82:83]
	v_add_f64 v[82:83], v[100:101], v[94:95]
	;; [unrolled: 1-line block ×5, first 2 shown]
	v_fma_f64 v[102:103], v[106:107], s[34:35], v[86:87]
	v_fma_f64 v[104:105], v[80:81], s[36:37], v[108:109]
	v_add_f64 v[94:95], v[110:111], v[164:165]
	v_add_f64 v[98:99], v[156:157], v[166:167]
	v_fma_f64 v[86:87], v[106:107], s[34:35], -v[86:87]
	v_fma_f64 v[110:111], v[106:107], s[4:5], v[152:153]
	v_fma_f64 v[156:157], v[80:81], s[2:3], v[160:161]
	v_fma_f64 v[152:153], v[106:107], s[4:5], -v[152:153]
	v_fma_f64 v[158:159], v[106:107], s[26:27], v[154:155]
	v_fma_f64 v[164:165], v[80:81], s[30:31], v[162:163]
	;; [unrolled: 3-line block ×5, first 2 shown]
	v_fma_f64 v[162:163], v[80:81], s[22:23], v[162:163]
	v_fma_f64 v[160:161], v[80:81], s[0:1], v[160:161]
	;; [unrolled: 1-line block ×3, first 2 shown]
	v_add_f64 v[40:41], v[52:53], v[46:47]
	v_add_f64 v[42:43], v[54:55], v[44:45]
	;; [unrolled: 1-line block ×22, first 2 shown]
	buffer_gl0_inv
	ds_write_b128 v212, v[40:43]
	ds_write_b128 v212, v[44:47] offset:160
	ds_write_b128 v212, v[52:55] offset:320
	ds_write_b128 v212, v[60:63] offset:480
	ds_write_b128 v212, v[68:71] offset:640
	ds_write_b128 v212, v[76:79] offset:800
	ds_write_b128 v212, v[80:83] offset:960
	ds_write_b128 v212, v[72:75] offset:1120
	ds_write_b128 v212, v[64:67] offset:1280
	ds_write_b128 v212, v[56:59] offset:1440
	ds_write_b128 v212, v[48:51] offset:1600
	s_waitcnt lgkmcnt(0)
	s_barrier
	buffer_gl0_inv
	ds_read_b128 v[40:43], v201 offset:1760
	ds_read_b128 v[44:47], v201 offset:3520
	;; [unrolled: 1-line block ×3, first 2 shown]
	s_waitcnt lgkmcnt(2)
	v_mul_f64 v[52:53], v[142:143], v[42:43]
	v_mul_f64 v[56:57], v[142:143], v[40:41]
	s_waitcnt lgkmcnt(1)
	v_mul_f64 v[58:59], v[130:131], v[46:47]
	v_mul_f64 v[60:61], v[130:131], v[44:45]
	v_fma_f64 v[72:73], v[140:141], v[40:41], v[52:53]
	ds_read_b128 v[52:55], v201
	v_fma_f64 v[74:75], v[140:141], v[42:43], -v[56:57]
	v_fma_f64 v[76:77], v[128:129], v[44:45], v[58:59]
	s_waitcnt lgkmcnt(1)
	v_mul_f64 v[56:57], v[126:127], v[50:51]
	v_mul_f64 v[58:59], v[126:127], v[48:49]
	v_fma_f64 v[78:79], v[128:129], v[46:47], -v[60:61]
	ds_read_b128 v[40:43], v201 offset:7040
	ds_read_b128 v[44:47], v201 offset:8800
	s_waitcnt lgkmcnt(2)
	v_add_f64 v[60:61], v[52:53], v[72:73]
	v_add_f64 v[62:63], v[54:55], v[74:75]
	v_fma_f64 v[80:81], v[124:125], v[48:49], v[56:57]
	v_fma_f64 v[82:83], v[124:125], v[50:51], -v[58:59]
	s_waitcnt lgkmcnt(1)
	v_mul_f64 v[64:65], v[122:123], v[42:43]
	v_mul_f64 v[66:67], v[122:123], v[40:41]
	ds_read_b128 v[48:51], v201 offset:17600
	ds_read_b128 v[56:59], v201 offset:15840
	s_waitcnt lgkmcnt(2)
	v_mul_f64 v[84:85], v[138:139], v[46:47]
	v_mul_f64 v[86:87], v[138:139], v[44:45]
	v_add_f64 v[68:69], v[60:61], v[76:77]
	v_add_f64 v[70:71], v[62:63], v[78:79]
	ds_read_b128 v[60:63], v201 offset:10560
	s_waitcnt lgkmcnt(2)
	v_mul_f64 v[92:93], v[146:147], v[48:49]
	v_fma_f64 v[88:89], v[120:121], v[40:41], v[64:65]
	v_fma_f64 v[90:91], v[120:121], v[42:43], -v[66:67]
	s_waitcnt lgkmcnt(1)
	v_mul_f64 v[94:95], v[150:151], v[56:57]
	v_fma_f64 v[44:45], v[136:137], v[44:45], v[84:85]
	v_fma_f64 v[46:47], v[136:137], v[46:47], -v[86:87]
	v_mul_f64 v[84:85], v[146:147], v[50:51]
	v_add_f64 v[40:41], v[68:69], v[80:81]
	s_waitcnt lgkmcnt(0)
	v_mul_f64 v[96:97], v[134:135], v[62:63]
	v_add_f64 v[42:43], v[70:71], v[82:83]
	v_mul_f64 v[86:87], v[134:135], v[60:61]
	ds_read_b128 v[64:67], v201 offset:14080
	ds_read_b128 v[68:71], v201 offset:12320
	v_add_f64 v[98:99], v[40:41], v[88:89]
	v_fma_f64 v[40:41], v[144:145], v[50:51], -v[92:93]
	v_add_f64 v[100:101], v[42:43], v[90:91]
	v_mul_f64 v[50:51], v[150:151], v[58:59]
	s_waitcnt lgkmcnt(1)
	v_mul_f64 v[92:93], v[114:115], v[64:65]
	v_fma_f64 v[58:59], v[148:149], v[58:59], -v[94:95]
	v_fma_f64 v[60:61], v[132:133], v[60:61], v[96:97]
	s_waitcnt lgkmcnt(0)
	v_mul_f64 v[94:95], v[118:119], v[70:71]
	v_mul_f64 v[96:97], v[118:119], v[68:69]
	v_fma_f64 v[42:43], v[144:145], v[48:49], v[84:85]
	v_fma_f64 v[48:49], v[132:133], v[62:63], -v[86:87]
	v_add_f64 v[62:63], v[98:99], v[44:45]
	v_add_f64 v[86:87], v[74:75], -v[40:41]
	v_add_f64 v[84:85], v[100:101], v[46:47]
	v_add_f64 v[74:75], v[74:75], v[40:41]
	v_mul_f64 v[98:99], v[114:115], v[66:67]
	v_fma_f64 v[50:51], v[148:149], v[56:57], v[50:51]
	v_fma_f64 v[56:57], v[112:113], v[66:67], -v[92:93]
	v_add_f64 v[66:67], v[78:79], -v[58:59]
	v_add_f64 v[78:79], v[78:79], v[58:59]
	v_fma_f64 v[68:69], v[116:117], v[68:69], v[94:95]
	v_fma_f64 v[70:71], v[116:117], v[70:71], -v[96:97]
	v_add_f64 v[92:93], v[72:73], v[42:43]
	v_add_f64 v[72:73], v[72:73], -v[42:43]
	v_add_f64 v[62:63], v[62:63], v[60:61]
	v_mul_f64 v[94:95], v[86:87], s[2:3]
	v_add_f64 v[84:85], v[84:85], v[48:49]
	v_mul_f64 v[96:97], v[74:75], s[4:5]
	v_fma_f64 v[64:65], v[112:113], v[64:65], v[98:99]
	v_add_f64 v[98:99], v[76:77], v[50:51]
	v_mul_f64 v[100:101], v[86:87], s[12:13]
	v_mul_f64 v[102:103], v[74:75], s[16:17]
	v_add_f64 v[76:77], v[76:77], -v[50:51]
	v_mul_f64 v[106:107], v[86:87], s[18:19]
	v_mul_f64 v[108:109], v[74:75], s[20:21]
	;; [unrolled: 1-line block ×8, first 2 shown]
	v_add_f64 v[104:105], v[82:83], -v[56:57]
	v_mul_f64 v[118:119], v[66:67], s[22:23]
	v_mul_f64 v[120:121], v[78:79], s[26:27]
	;; [unrolled: 1-line block ×4, first 2 shown]
	v_add_f64 v[62:63], v[62:63], v[68:69]
	v_fma_f64 v[126:127], v[92:93], s[4:5], v[94:95]
	v_add_f64 v[84:85], v[84:85], v[70:71]
	v_fma_f64 v[128:129], v[72:73], s[0:1], v[96:97]
	v_fma_f64 v[94:95], v[92:93], s[4:5], -v[94:95]
	v_fma_f64 v[96:97], v[72:73], s[2:3], v[96:97]
	v_fma_f64 v[130:131], v[92:93], s[16:17], v[100:101]
	v_fma_f64 v[132:133], v[72:73], s[14:15], v[102:103]
	v_fma_f64 v[100:101], v[92:93], s[16:17], -v[100:101]
	v_fma_f64 v[102:103], v[72:73], s[12:13], v[102:103]
	v_fma_f64 v[134:135], v[92:93], s[20:21], v[106:107]
	;; [unrolled: 4-line block ×4, first 2 shown]
	v_fma_f64 v[144:145], v[72:73], s[36:37], v[74:75]
	v_fma_f64 v[86:87], v[92:93], s[34:35], -v[86:87]
	v_fma_f64 v[72:73], v[72:73], s[28:29], v[74:75]
	v_add_f64 v[62:63], v[62:63], v[64:65]
	v_fma_f64 v[92:93], v[76:77], s[14:15], v[116:117]
	v_add_f64 v[74:75], v[84:85], v[56:57]
	;; [unrolled: 2-line block ×3, first 2 shown]
	v_add_f64 v[128:129], v[54:55], v[128:129]
	v_add_f64 v[56:57], v[82:83], v[56:57]
	;; [unrolled: 1-line block ×20, first 2 shown]
	v_fma_f64 v[62:63], v[98:99], s[16:17], -v[114:115]
	v_fma_f64 v[74:75], v[76:77], s[12:13], v[116:117]
	v_mul_f64 v[82:83], v[66:67], s[24:25]
	v_mul_f64 v[114:115], v[78:79], s[20:21]
	v_add_f64 v[52:53], v[52:53], v[86:87]
	v_add_f64 v[54:55], v[54:55], v[72:73]
	v_mul_f64 v[66:67], v[66:67], s[0:1]
	v_mul_f64 v[72:73], v[78:79], s[4:5]
	v_fma_f64 v[78:79], v[98:99], s[26:27], v[118:119]
	v_fma_f64 v[86:87], v[76:77], s[30:31], v[120:121]
	v_fma_f64 v[116:117], v[98:99], s[26:27], -v[118:119]
	v_fma_f64 v[118:119], v[76:77], s[22:23], v[120:121]
	v_fma_f64 v[120:121], v[98:99], s[34:35], v[122:123]
	v_fma_f64 v[146:147], v[76:77], s[28:29], v[124:125]
	v_add_f64 v[84:85], v[84:85], v[126:127]
	v_add_f64 v[92:93], v[92:93], v[128:129]
	v_fma_f64 v[122:123], v[98:99], s[34:35], -v[122:123]
	v_add_f64 v[126:127], v[80:81], v[64:65]
	v_mul_f64 v[128:129], v[104:105], s[18:19]
	v_fma_f64 v[124:125], v[76:77], s[36:37], v[124:125]
	v_add_f64 v[64:65], v[80:81], -v[64:65]
	v_mul_f64 v[80:81], v[56:57], s[20:21]
	v_add_f64 v[62:63], v[62:63], v[94:95]
	v_add_f64 v[74:75], v[74:75], v[96:97]
	v_fma_f64 v[94:95], v[98:99], s[20:21], v[82:83]
	v_fma_f64 v[96:97], v[76:77], s[18:19], v[114:115]
	v_fma_f64 v[82:83], v[98:99], s[20:21], -v[82:83]
	v_fma_f64 v[114:115], v[76:77], s[24:25], v[114:115]
	v_fma_f64 v[148:149], v[98:99], s[4:5], v[66:67]
	v_fma_f64 v[150:151], v[76:77], s[2:3], v[72:73]
	v_add_f64 v[78:79], v[78:79], v[130:131]
	v_add_f64 v[86:87], v[86:87], v[132:133]
	;; [unrolled: 1-line block ×3, first 2 shown]
	v_mul_f64 v[130:131], v[56:57], s[34:35]
	v_add_f64 v[116:117], v[120:121], v[134:135]
	v_mul_f64 v[120:121], v[104:105], s[36:37]
	v_fma_f64 v[66:67], v[98:99], s[4:5], -v[66:67]
	v_fma_f64 v[72:73], v[76:77], s[0:1], v[72:73]
	v_add_f64 v[98:99], v[122:123], v[106:107]
	v_mul_f64 v[122:123], v[104:105], s[14:15]
	v_fma_f64 v[76:77], v[126:127], s[20:21], v[128:129]
	v_add_f64 v[106:107], v[124:125], v[108:109]
	v_mul_f64 v[124:125], v[56:57], s[16:17]
	v_fma_f64 v[108:109], v[64:65], s[24:25], v[80:81]
	v_add_f64 v[132:133], v[90:91], -v[70:71]
	v_add_f64 v[70:71], v[90:91], v[70:71]
	v_add_f64 v[102:103], v[118:119], v[102:103]
	;; [unrolled: 1-line block ×4, first 2 shown]
	v_mul_f64 v[90:91], v[104:105], s[2:3]
	v_mul_f64 v[134:135], v[56:57], s[4:5]
	v_fma_f64 v[128:129], v[126:127], s[20:21], -v[128:129]
	v_fma_f64 v[80:81], v[64:65], s[18:19], v[80:81]
	v_mul_f64 v[56:57], v[56:57], s[26:27]
	v_mul_f64 v[104:105], v[104:105], s[22:23]
	v_fma_f64 v[138:139], v[64:65], s[28:29], v[130:131]
	v_add_f64 v[96:97], v[96:97], v[140:141]
	v_fma_f64 v[136:137], v[126:127], s[34:35], v[120:121]
	v_add_f64 v[52:53], v[66:67], v[52:53]
	v_add_f64 v[54:55], v[72:73], v[54:55]
	v_fma_f64 v[72:73], v[126:127], s[34:35], -v[120:121]
	v_fma_f64 v[120:121], v[126:127], s[16:17], -v[122:123]
	v_add_f64 v[66:67], v[76:77], v[84:85]
	v_fma_f64 v[76:77], v[64:65], s[36:37], v[130:131]
	v_add_f64 v[82:83], v[82:83], v[110:111]
	v_add_f64 v[84:85], v[108:109], v[92:93]
	v_fma_f64 v[92:93], v[126:127], s[16:17], v[122:123]
	v_fma_f64 v[108:109], v[64:65], s[12:13], v[124:125]
	;; [unrolled: 1-line block ×3, first 2 shown]
	v_add_f64 v[124:125], v[88:89], v[68:69]
	v_add_f64 v[68:69], v[88:89], -v[68:69]
	v_mul_f64 v[88:89], v[132:133], s[22:23]
	v_mul_f64 v[130:131], v[70:71], s[26:27]
	v_add_f64 v[110:111], v[114:115], v[112:113]
	v_add_f64 v[112:113], v[148:149], v[142:143]
	v_fma_f64 v[140:141], v[126:127], s[4:5], v[90:91]
	v_fma_f64 v[142:143], v[64:65], s[0:1], v[134:135]
	v_add_f64 v[62:63], v[128:129], v[62:63]
	v_add_f64 v[74:75], v[80:81], v[74:75]
	v_add_f64 v[80:81], v[138:139], v[86:87]
	v_mul_f64 v[86:87], v[132:133], s[24:25]
	v_mul_f64 v[128:129], v[70:71], s[20:21]
	v_fma_f64 v[90:91], v[126:127], s[4:5], -v[90:91]
	v_add_f64 v[72:73], v[72:73], v[100:101]
	v_fma_f64 v[100:101], v[64:65], s[2:3], v[134:135]
	v_add_f64 v[114:115], v[150:151], v[144:145]
	v_add_f64 v[76:77], v[76:77], v[102:103]
	;; [unrolled: 1-line block ×4, first 2 shown]
	v_fma_f64 v[116:117], v[64:65], s[30:31], v[56:57]
	v_fma_f64 v[56:57], v[64:65], s[22:23], v[56:57]
	v_add_f64 v[102:103], v[108:109], v[118:119]
	v_fma_f64 v[108:109], v[126:127], s[26:27], v[104:105]
	v_fma_f64 v[64:65], v[124:125], s[26:27], v[88:89]
	v_mul_f64 v[120:121], v[132:133], s[2:3]
	v_add_f64 v[106:107], v[122:123], v[106:107]
	v_fma_f64 v[104:105], v[126:127], s[26:27], -v[104:105]
	v_fma_f64 v[88:89], v[124:125], s[26:27], -v[88:89]
	v_fma_f64 v[122:123], v[68:69], s[22:23], v[130:131]
	v_mul_f64 v[126:127], v[70:71], s[4:5]
	v_fma_f64 v[118:119], v[68:69], s[30:31], v[130:131]
	v_add_f64 v[94:95], v[140:141], v[94:95]
	v_fma_f64 v[130:131], v[124:125], s[20:21], v[86:87]
	v_fma_f64 v[134:135], v[68:69], s[18:19], v[128:129]
	v_add_f64 v[82:83], v[90:91], v[82:83]
	v_fma_f64 v[86:87], v[124:125], s[20:21], -v[86:87]
	v_fma_f64 v[90:91], v[68:69], s[24:25], v[128:129]
	v_add_f64 v[100:101], v[100:101], v[110:111]
	v_mul_f64 v[110:111], v[132:133], s[28:29]
	v_mul_f64 v[128:129], v[70:71], s[34:35]
	;; [unrolled: 1-line block ×3, first 2 shown]
	v_add_f64 v[96:97], v[142:143], v[96:97]
	v_add_f64 v[54:55], v[56:57], v[54:55]
	;; [unrolled: 1-line block ×5, first 2 shown]
	v_add_f64 v[66:67], v[46:47], -v[48:49]
	v_add_f64 v[46:47], v[46:47], v[48:49]
	v_add_f64 v[112:113], v[116:117], v[114:115]
	v_mul_f64 v[114:115], v[132:133], s[14:15]
	v_fma_f64 v[48:49], v[124:125], s[4:5], v[120:121]
	v_add_f64 v[62:63], v[88:89], v[62:63]
	v_add_f64 v[88:89], v[122:123], v[74:75]
	v_fma_f64 v[74:75], v[68:69], s[0:1], v[126:127]
	v_add_f64 v[64:65], v[118:119], v[84:85]
	v_fma_f64 v[84:85], v[124:125], s[4:5], -v[120:121]
	v_add_f64 v[52:53], v[104:105], v[52:53]
	v_add_f64 v[72:73], v[86:87], v[72:73]
	;; [unrolled: 1-line block ×3, first 2 shown]
	v_fma_f64 v[76:77], v[68:69], s[2:3], v[126:127]
	v_fma_f64 v[90:91], v[124:125], s[34:35], v[110:111]
	;; [unrolled: 1-line block ×6, first 2 shown]
	v_add_f64 v[70:71], v[44:45], v[60:61]
	v_add_f64 v[44:45], v[44:45], -v[60:61]
	v_fma_f64 v[110:111], v[124:125], s[34:35], -v[110:111]
	v_mul_f64 v[60:61], v[66:67], s[28:29]
	v_mul_f64 v[122:123], v[46:47], s[34:35]
	;; [unrolled: 1-line block ×3, first 2 shown]
	v_fma_f64 v[118:119], v[124:125], s[16:17], v[114:115]
	v_fma_f64 v[114:115], v[124:125], s[16:17], -v[114:115]
	v_add_f64 v[92:93], v[48:49], v[92:93]
	v_mul_f64 v[48:49], v[66:67], s[0:1]
	v_mul_f64 v[124:125], v[46:47], s[4:5]
	v_add_f64 v[74:75], v[74:75], v[102:103]
	v_mul_f64 v[102:103], v[66:67], s[22:23]
	v_add_f64 v[84:85], v[84:85], v[98:99]
	v_mul_f64 v[98:99], v[66:67], s[14:15]
	v_mul_f64 v[128:129], v[46:47], s[16:17]
	;; [unrolled: 1-line block ×4, first 2 shown]
	v_add_f64 v[106:107], v[76:77], v[106:107]
	v_add_f64 v[76:77], v[90:91], v[94:95]
	;; [unrolled: 1-line block ×7, first 2 shown]
	v_fma_f64 v[54:55], v[70:71], s[34:35], v[60:61]
	v_fma_f64 v[104:105], v[44:45], s[36:37], v[122:123]
	v_add_f64 v[94:95], v[116:117], v[100:101]
	v_add_f64 v[96:97], v[118:119], v[108:109]
	;; [unrolled: 1-line block ×3, first 2 shown]
	v_fma_f64 v[60:61], v[70:71], s[34:35], -v[60:61]
	v_fma_f64 v[108:109], v[70:71], s[4:5], v[48:49]
	v_fma_f64 v[110:111], v[44:45], s[2:3], v[124:125]
	;; [unrolled: 1-line block ×4, first 2 shown]
	v_add_f64 v[100:101], v[120:121], v[112:113]
	v_fma_f64 v[112:113], v[70:71], s[4:5], -v[48:49]
	v_fma_f64 v[118:119], v[70:71], s[16:17], v[98:99]
	v_fma_f64 v[120:121], v[44:45], s[12:13], v[128:129]
	;; [unrolled: 1-line block ×4, first 2 shown]
	v_fma_f64 v[102:103], v[70:71], s[26:27], -v[102:103]
	v_fma_f64 v[98:99], v[70:71], s[16:17], -v[98:99]
	;; [unrolled: 1-line block ×3, first 2 shown]
	v_fma_f64 v[136:137], v[44:45], s[18:19], v[46:47]
	v_fma_f64 v[128:129], v[44:45], s[14:15], v[128:129]
	;; [unrolled: 1-line block ×5, first 2 shown]
	v_add_f64 v[42:43], v[50:51], v[42:43]
	v_add_f64 v[44:45], v[58:59], v[40:41]
	;; [unrolled: 1-line block ×22, first 2 shown]
	ds_write_b128 v201, v[42:45]
	ds_write_b128 v201, v[46:49] offset:1760
	ds_write_b128 v201, v[54:57] offset:3520
	;; [unrolled: 1-line block ×10, first 2 shown]
	s_waitcnt lgkmcnt(0)
	s_barrier
	buffer_gl0_inv
	ds_read_b128 v[40:43], v201
	ds_read_b128 v[44:47], v201 offset:9680
	ds_read_b128 v[48:51], v201 offset:1760
	v_mad_u64_u32 v[60:61], null, s10, v198, 0
	s_mov_b32 s2, 0xdfd760e6
	s_mov_b32 s3, 0x3f4b14bb
	ds_read_b128 v[52:55], v201 offset:7040
	s_mul_i32 s1, s9, 0x25d
	s_mul_hi_u32 s4, s8, 0x25d
	s_add_i32 s1, s4, s1
	s_waitcnt lgkmcnt(3)
	v_mul_f64 v[56:57], v[2:3], v[42:43]
	v_mul_f64 v[2:3], v[2:3], v[40:41]
	s_waitcnt lgkmcnt(2)
	v_mul_f64 v[58:59], v[26:27], v[46:47]
	v_mul_f64 v[26:27], v[26:27], v[44:45]
	v_fma_f64 v[40:41], v[0:1], v[40:41], v[56:57]
	v_fma_f64 v[2:3], v[0:1], v[42:43], -v[2:3]
	v_mad_u64_u32 v[42:43], null, s8, v202, 0
	v_mad_u64_u32 v[0:1], null, s11, v198, v[61:62]
	v_fma_f64 v[44:45], v[24:25], v[44:45], v[58:59]
	v_fma_f64 v[46:47], v[24:25], v[46:47], -v[26:27]
	s_waitcnt lgkmcnt(1)
	v_mul_f64 v[56:57], v[6:7], v[50:51]
	v_mul_f64 v[6:7], v[6:7], v[48:49]
	v_mov_b32_e32 v1, v43
	v_mov_b32_e32 v61, v0
	v_lshlrev_b64 v[58:59], 4, v[60:61]
	v_mad_u64_u32 v[24:25], null, s9, v202, v[1:2]
	v_add_co_u32 v60, s0, s6, v58
	v_add_co_ci_u32_e64 v61, s0, s7, v59, s0
	v_mul_f64 v[0:1], v[40:41], s[2:3]
	v_mul_f64 v[2:3], v[2:3], s[2:3]
	v_mov_b32_e32 v43, v24
	ds_read_b128 v[24:27], v201 offset:11440
	v_mul_f64 v[40:41], v[44:45], s[2:3]
	v_fma_f64 v[48:49], v[4:5], v[48:49], v[56:57]
	v_lshlrev_b64 v[58:59], 4, v[42:43]
	v_mul_f64 v[42:43], v[46:47], s[2:3]
	ds_read_b128 v[44:47], v201 offset:3520
	v_add_co_u32 v72, s0, v60, v58
	v_add_co_ci_u32_e64 v73, s0, v61, v59, s0
	ds_read_b128 v[56:59], v201 offset:13200
	ds_read_b128 v[60:63], v201 offset:5280
	;; [unrolled: 1-line block ×4, first 2 shown]
	s_mul_i32 s0, s8, 0x25d
	s_lshl_b64 s[4:5], s[0:1], 4
	s_waitcnt lgkmcnt(5)
	v_mul_f64 v[74:75], v[22:23], v[26:27]
	v_mul_f64 v[22:23], v[22:23], v[24:25]
	v_add_co_u32 v76, s0, v72, s4
	v_add_co_ci_u32_e64 v77, s0, s5, v73, s0
	global_store_dwordx4 v[72:73], v[0:3], off
	v_fma_f64 v[2:3], v[4:5], v[50:51], -v[6:7]
	s_waitcnt lgkmcnt(4)
	v_mul_f64 v[4:5], v[18:19], v[46:47]
	global_store_dwordx4 v[76:77], v[40:43], off
	v_mul_f64 v[6:7], v[18:19], v[44:45]
	v_mul_f64 v[40:41], v[34:35], v[54:55]
	;; [unrolled: 1-line block ×3, first 2 shown]
	s_mul_hi_u32 s0, s8, 0xfffffe11
	s_waitcnt lgkmcnt(3)
	v_mul_f64 v[18:19], v[14:15], v[58:59]
	v_mul_f64 v[14:15], v[14:15], v[56:57]
	s_waitcnt lgkmcnt(0)
	v_mul_f64 v[42:43], v[38:39], v[70:71]
	v_mul_f64 v[38:39], v[38:39], v[68:69]
	s_mul_i32 s1, s9, 0xfffffe11
	s_sub_i32 s0, s0, s8
	v_mul_f64 v[0:1], v[48:49], s[2:3]
	s_add_i32 s1, s0, s1
	v_fma_f64 v[24:25], v[20:21], v[24:25], v[74:75]
	v_fma_f64 v[20:21], v[20:21], v[26:27], -v[22:23]
	v_mul_f64 v[22:23], v[10:11], v[62:63]
	v_mul_f64 v[26:27], v[30:31], v[66:67]
	v_mul_f64 v[30:31], v[30:31], v[64:65]
	v_mul_f64 v[10:11], v[10:11], v[60:61]
	s_mul_i32 s0, s8, 0xfffffe11
	v_mul_f64 v[2:3], v[2:3], s[2:3]
	s_lshl_b64 s[6:7], s[0:1], 4
	v_fma_f64 v[44:45], v[16:17], v[44:45], v[4:5]
	v_fma_f64 v[16:17], v[16:17], v[46:47], -v[6:7]
	v_add_co_u32 v46, s0, v76, s6
	v_add_co_ci_u32_e64 v47, s0, s7, v77, s0
	v_fma_f64 v[18:19], v[12:13], v[56:57], v[18:19]
	v_fma_f64 v[14:15], v[12:13], v[58:59], -v[14:15]
	v_mul_f64 v[4:5], v[24:25], s[2:3]
	v_mul_f64 v[6:7], v[20:21], s[2:3]
	v_fma_f64 v[20:21], v[8:9], v[60:61], v[22:23]
	v_fma_f64 v[24:25], v[28:29], v[64:65], v[26:27]
	v_fma_f64 v[26:27], v[28:29], v[66:67], -v[30:31]
	v_fma_f64 v[28:29], v[32:33], v[52:53], v[40:41]
	v_fma_f64 v[30:31], v[32:33], v[54:55], -v[34:35]
	;; [unrolled: 2-line block ×3, first 2 shown]
	v_fma_f64 v[34:35], v[36:37], v[70:71], -v[38:39]
	v_add_co_u32 v36, s0, v46, s4
	v_add_co_ci_u32_e64 v37, s0, s5, v47, s0
	v_mul_f64 v[8:9], v[44:45], s[2:3]
	v_add_co_u32 v38, s0, v36, s6
	v_add_co_ci_u32_e64 v39, s0, s7, v37, s0
	v_mul_f64 v[10:11], v[16:17], s[2:3]
	;; [unrolled: 3-line block ×3, first 2 shown]
	v_mul_f64 v[14:15], v[14:15], s[2:3]
	v_mul_f64 v[16:17], v[20:21], s[2:3]
	;; [unrolled: 1-line block ×5, first 2 shown]
	v_add_co_u32 v32, s0, v40, s6
	v_mul_f64 v[18:19], v[22:23], s[2:3]
	v_mul_f64 v[22:23], v[26:27], s[2:3]
	v_add_co_ci_u32_e64 v33, s0, s7, v41, s0
	v_mul_f64 v[26:27], v[30:31], s[2:3]
	v_mul_f64 v[30:31], v[34:35], s[2:3]
	global_store_dwordx4 v[46:47], v[0:3], off
	v_add_co_u32 v2, s0, v32, s4
	v_add_co_ci_u32_e64 v3, s0, s5, v33, s0
	global_store_dwordx4 v[36:37], v[4:7], off
	v_add_co_u32 v4, s0, v2, s6
	v_add_co_ci_u32_e64 v5, s0, s7, v3, s0
	;; [unrolled: 3-line block ×3, first 2 shown]
	global_store_dwordx4 v[40:41], v[12:15], off
	global_store_dwordx4 v[32:33], v[16:19], off
	global_store_dwordx4 v[2:3], v[20:23], off
	global_store_dwordx4 v[4:5], v[24:27], off
	global_store_dwordx4 v[0:1], v[28:31], off
	s_and_b32 exec_lo, exec_lo, vcc_lo
	s_cbranch_execz .LBB0_23
; %bb.22:
	s_clause 0x1
	global_load_dwordx4 v[2:5], v[196:197], off offset:608
	global_load_dwordx4 v[6:9], v[199:200], off offset:48
	ds_read_b128 v[10:13], v201 offset:8800
	ds_read_b128 v[14:17], v201 offset:18480
	v_add_co_u32 v0, vcc_lo, v0, s6
	v_add_co_ci_u32_e32 v1, vcc_lo, s7, v1, vcc_lo
	s_waitcnt vmcnt(1) lgkmcnt(1)
	v_mul_f64 v[18:19], v[12:13], v[4:5]
	v_mul_f64 v[4:5], v[10:11], v[4:5]
	s_waitcnt vmcnt(0) lgkmcnt(0)
	v_mul_f64 v[20:21], v[16:17], v[8:9]
	v_mul_f64 v[8:9], v[14:15], v[8:9]
	v_fma_f64 v[10:11], v[10:11], v[2:3], v[18:19]
	v_fma_f64 v[4:5], v[2:3], v[12:13], -v[4:5]
	v_fma_f64 v[12:13], v[14:15], v[6:7], v[20:21]
	v_fma_f64 v[8:9], v[6:7], v[16:17], -v[8:9]
	v_mul_f64 v[2:3], v[10:11], s[2:3]
	v_mul_f64 v[4:5], v[4:5], s[2:3]
	;; [unrolled: 1-line block ×4, first 2 shown]
	v_add_co_u32 v10, vcc_lo, v0, s4
	v_add_co_ci_u32_e32 v11, vcc_lo, s5, v1, vcc_lo
	global_store_dwordx4 v[0:1], v[2:5], off
	global_store_dwordx4 v[10:11], v[6:9], off
.LBB0_23:
	s_endpgm
	.section	.rodata,"a",@progbits
	.p2align	6, 0x0
	.amdhsa_kernel bluestein_single_back_len1210_dim1_dp_op_CI_CI
		.amdhsa_group_segment_fixed_size 19360
		.amdhsa_private_segment_fixed_size 0
		.amdhsa_kernarg_size 104
		.amdhsa_user_sgpr_count 6
		.amdhsa_user_sgpr_private_segment_buffer 1
		.amdhsa_user_sgpr_dispatch_ptr 0
		.amdhsa_user_sgpr_queue_ptr 0
		.amdhsa_user_sgpr_kernarg_segment_ptr 1
		.amdhsa_user_sgpr_dispatch_id 0
		.amdhsa_user_sgpr_flat_scratch_init 0
		.amdhsa_user_sgpr_private_segment_size 0
		.amdhsa_wavefront_size32 1
		.amdhsa_uses_dynamic_stack 0
		.amdhsa_system_sgpr_private_segment_wavefront_offset 0
		.amdhsa_system_sgpr_workgroup_id_x 1
		.amdhsa_system_sgpr_workgroup_id_y 0
		.amdhsa_system_sgpr_workgroup_id_z 0
		.amdhsa_system_sgpr_workgroup_info 0
		.amdhsa_system_vgpr_workitem_id 0
		.amdhsa_next_free_vgpr 253
		.amdhsa_next_free_sgpr 40
		.amdhsa_reserve_vcc 1
		.amdhsa_reserve_flat_scratch 0
		.amdhsa_float_round_mode_32 0
		.amdhsa_float_round_mode_16_64 0
		.amdhsa_float_denorm_mode_32 3
		.amdhsa_float_denorm_mode_16_64 3
		.amdhsa_dx10_clamp 1
		.amdhsa_ieee_mode 1
		.amdhsa_fp16_overflow 0
		.amdhsa_workgroup_processor_mode 1
		.amdhsa_memory_ordered 1
		.amdhsa_forward_progress 0
		.amdhsa_shared_vgpr_count 0
		.amdhsa_exception_fp_ieee_invalid_op 0
		.amdhsa_exception_fp_denorm_src 0
		.amdhsa_exception_fp_ieee_div_zero 0
		.amdhsa_exception_fp_ieee_overflow 0
		.amdhsa_exception_fp_ieee_underflow 0
		.amdhsa_exception_fp_ieee_inexact 0
		.amdhsa_exception_int_div_zero 0
	.end_amdhsa_kernel
	.text
.Lfunc_end0:
	.size	bluestein_single_back_len1210_dim1_dp_op_CI_CI, .Lfunc_end0-bluestein_single_back_len1210_dim1_dp_op_CI_CI
                                        ; -- End function
	.section	.AMDGPU.csdata,"",@progbits
; Kernel info:
; codeLenInByte = 20992
; NumSgprs: 42
; NumVgprs: 253
; ScratchSize: 0
; MemoryBound: 0
; FloatMode: 240
; IeeeMode: 1
; LDSByteSize: 19360 bytes/workgroup (compile time only)
; SGPRBlocks: 5
; VGPRBlocks: 31
; NumSGPRsForWavesPerEU: 42
; NumVGPRsForWavesPerEU: 253
; Occupancy: 4
; WaveLimiterHint : 1
; COMPUTE_PGM_RSRC2:SCRATCH_EN: 0
; COMPUTE_PGM_RSRC2:USER_SGPR: 6
; COMPUTE_PGM_RSRC2:TRAP_HANDLER: 0
; COMPUTE_PGM_RSRC2:TGID_X_EN: 1
; COMPUTE_PGM_RSRC2:TGID_Y_EN: 0
; COMPUTE_PGM_RSRC2:TGID_Z_EN: 0
; COMPUTE_PGM_RSRC2:TIDIG_COMP_CNT: 0
	.text
	.p2alignl 6, 3214868480
	.fill 48, 4, 3214868480
	.type	__hip_cuid_7439109f7fb037f9,@object ; @__hip_cuid_7439109f7fb037f9
	.section	.bss,"aw",@nobits
	.globl	__hip_cuid_7439109f7fb037f9
__hip_cuid_7439109f7fb037f9:
	.byte	0                               ; 0x0
	.size	__hip_cuid_7439109f7fb037f9, 1

	.ident	"AMD clang version 19.0.0git (https://github.com/RadeonOpenCompute/llvm-project roc-6.4.0 25133 c7fe45cf4b819c5991fe208aaa96edf142730f1d)"
	.section	".note.GNU-stack","",@progbits
	.addrsig
	.addrsig_sym __hip_cuid_7439109f7fb037f9
	.amdgpu_metadata
---
amdhsa.kernels:
  - .args:
      - .actual_access:  read_only
        .address_space:  global
        .offset:         0
        .size:           8
        .value_kind:     global_buffer
      - .actual_access:  read_only
        .address_space:  global
        .offset:         8
        .size:           8
        .value_kind:     global_buffer
      - .actual_access:  read_only
        .address_space:  global
        .offset:         16
        .size:           8
        .value_kind:     global_buffer
      - .actual_access:  read_only
        .address_space:  global
        .offset:         24
        .size:           8
        .value_kind:     global_buffer
      - .actual_access:  read_only
        .address_space:  global
        .offset:         32
        .size:           8
        .value_kind:     global_buffer
      - .offset:         40
        .size:           8
        .value_kind:     by_value
      - .address_space:  global
        .offset:         48
        .size:           8
        .value_kind:     global_buffer
      - .address_space:  global
        .offset:         56
        .size:           8
        .value_kind:     global_buffer
      - .address_space:  global
        .offset:         64
        .size:           8
        .value_kind:     global_buffer
      - .address_space:  global
        .offset:         72
        .size:           8
        .value_kind:     global_buffer
      - .offset:         80
        .size:           4
        .value_kind:     by_value
      - .address_space:  global
        .offset:         88
        .size:           8
        .value_kind:     global_buffer
      - .address_space:  global
        .offset:         96
        .size:           8
        .value_kind:     global_buffer
    .group_segment_fixed_size: 19360
    .kernarg_segment_align: 8
    .kernarg_segment_size: 104
    .language:       OpenCL C
    .language_version:
      - 2
      - 0
    .max_flat_workgroup_size: 110
    .name:           bluestein_single_back_len1210_dim1_dp_op_CI_CI
    .private_segment_fixed_size: 0
    .sgpr_count:     42
    .sgpr_spill_count: 0
    .symbol:         bluestein_single_back_len1210_dim1_dp_op_CI_CI.kd
    .uniform_work_group_size: 1
    .uses_dynamic_stack: false
    .vgpr_count:     253
    .vgpr_spill_count: 0
    .wavefront_size: 32
    .workgroup_processor_mode: 1
amdhsa.target:   amdgcn-amd-amdhsa--gfx1030
amdhsa.version:
  - 1
  - 2
...

	.end_amdgpu_metadata
